;; amdgpu-corpus repo=ROCm/rocThrust kind=compiled arch=gfx90a opt=O3
	.text
	.amdgcn_target "amdgcn-amd-amdhsa--gfx90a"
	.amdhsa_code_object_version 6
	.section	.text._ZN6thrust23THRUST_200600_302600_NS11hip_rocprim14__parallel_for6kernelILj256ENS1_20__uninitialized_fill7functorINS0_10device_ptrIfEEfEEmLj1EEEvT0_T1_SA_,"axG",@progbits,_ZN6thrust23THRUST_200600_302600_NS11hip_rocprim14__parallel_for6kernelILj256ENS1_20__uninitialized_fill7functorINS0_10device_ptrIfEEfEEmLj1EEEvT0_T1_SA_,comdat
	.protected	_ZN6thrust23THRUST_200600_302600_NS11hip_rocprim14__parallel_for6kernelILj256ENS1_20__uninitialized_fill7functorINS0_10device_ptrIfEEfEEmLj1EEEvT0_T1_SA_ ; -- Begin function _ZN6thrust23THRUST_200600_302600_NS11hip_rocprim14__parallel_for6kernelILj256ENS1_20__uninitialized_fill7functorINS0_10device_ptrIfEEfEEmLj1EEEvT0_T1_SA_
	.globl	_ZN6thrust23THRUST_200600_302600_NS11hip_rocprim14__parallel_for6kernelILj256ENS1_20__uninitialized_fill7functorINS0_10device_ptrIfEEfEEmLj1EEEvT0_T1_SA_
	.p2align	8
	.type	_ZN6thrust23THRUST_200600_302600_NS11hip_rocprim14__parallel_for6kernelILj256ENS1_20__uninitialized_fill7functorINS0_10device_ptrIfEEfEEmLj1EEEvT0_T1_SA_,@function
_ZN6thrust23THRUST_200600_302600_NS11hip_rocprim14__parallel_for6kernelILj256ENS1_20__uninitialized_fill7functorINS0_10device_ptrIfEEfEEmLj1EEEvT0_T1_SA_: ; @_ZN6thrust23THRUST_200600_302600_NS11hip_rocprim14__parallel_for6kernelILj256ENS1_20__uninitialized_fill7functorINS0_10device_ptrIfEEfEEmLj1EEEvT0_T1_SA_
; %bb.0:
	s_load_dwordx4 s[8:11], s[4:5], 0x10
	s_lshl_b32 s0, s6, 8
	v_mov_b32_e32 v2, 0x100
	v_mov_b32_e32 v3, 0
	s_waitcnt lgkmcnt(0)
	s_add_u32 s0, s0, s10
	s_addc_u32 s1, 0, s11
	s_sub_u32 s2, s8, s0
	s_subb_u32 s3, s9, s1
	v_cmp_lt_u64_e32 vcc, s[2:3], v[2:3]
	s_cbranch_vccz .LBB0_2
; %bb.1:
	v_cmp_gt_u32_e32 vcc, s2, v0
	s_and_b64 s[2:3], vcc, exec
	s_cbranch_execz .LBB0_3
	s_branch .LBB0_4
.LBB0_2:
	s_mov_b64 s[2:3], 0
.LBB0_3:
	s_or_b64 s[2:3], s[2:3], exec
.LBB0_4:
	s_and_saveexec_b64 s[6:7], s[2:3]
	s_cbranch_execnz .LBB0_6
; %bb.5:
	s_endpgm
.LBB0_6:
	s_load_dwordx2 s[2:3], s[4:5], 0x0
	s_load_dword s6, s[4:5], 0x8
	s_lshl_b64 s[0:1], s[0:1], 2
	v_mov_b32_e32 v1, 0
	v_lshlrev_b64 v[0:1], 2, v[0:1]
	s_waitcnt lgkmcnt(0)
	s_add_u32 s0, s2, s0
	s_addc_u32 s1, s3, s1
	v_mov_b32_e32 v2, s1
	v_add_co_u32_e32 v0, vcc, s0, v0
	v_addc_co_u32_e32 v1, vcc, v2, v1, vcc
	v_mov_b32_e32 v2, s6
	flat_store_dword v[0:1], v2
	s_endpgm
	.section	.rodata,"a",@progbits
	.p2align	6, 0x0
	.amdhsa_kernel _ZN6thrust23THRUST_200600_302600_NS11hip_rocprim14__parallel_for6kernelILj256ENS1_20__uninitialized_fill7functorINS0_10device_ptrIfEEfEEmLj1EEEvT0_T1_SA_
		.amdhsa_group_segment_fixed_size 0
		.amdhsa_private_segment_fixed_size 0
		.amdhsa_kernarg_size 32
		.amdhsa_user_sgpr_count 6
		.amdhsa_user_sgpr_private_segment_buffer 1
		.amdhsa_user_sgpr_dispatch_ptr 0
		.amdhsa_user_sgpr_queue_ptr 0
		.amdhsa_user_sgpr_kernarg_segment_ptr 1
		.amdhsa_user_sgpr_dispatch_id 0
		.amdhsa_user_sgpr_flat_scratch_init 0
		.amdhsa_user_sgpr_kernarg_preload_length 0
		.amdhsa_user_sgpr_kernarg_preload_offset 0
		.amdhsa_user_sgpr_private_segment_size 0
		.amdhsa_uses_dynamic_stack 0
		.amdhsa_system_sgpr_private_segment_wavefront_offset 0
		.amdhsa_system_sgpr_workgroup_id_x 1
		.amdhsa_system_sgpr_workgroup_id_y 0
		.amdhsa_system_sgpr_workgroup_id_z 0
		.amdhsa_system_sgpr_workgroup_info 0
		.amdhsa_system_vgpr_workitem_id 0
		.amdhsa_next_free_vgpr 4
		.amdhsa_next_free_sgpr 12
		.amdhsa_accum_offset 4
		.amdhsa_reserve_vcc 1
		.amdhsa_reserve_flat_scratch 0
		.amdhsa_float_round_mode_32 0
		.amdhsa_float_round_mode_16_64 0
		.amdhsa_float_denorm_mode_32 3
		.amdhsa_float_denorm_mode_16_64 3
		.amdhsa_dx10_clamp 1
		.amdhsa_ieee_mode 1
		.amdhsa_fp16_overflow 0
		.amdhsa_tg_split 0
		.amdhsa_exception_fp_ieee_invalid_op 0
		.amdhsa_exception_fp_denorm_src 0
		.amdhsa_exception_fp_ieee_div_zero 0
		.amdhsa_exception_fp_ieee_overflow 0
		.amdhsa_exception_fp_ieee_underflow 0
		.amdhsa_exception_fp_ieee_inexact 0
		.amdhsa_exception_int_div_zero 0
	.end_amdhsa_kernel
	.section	.text._ZN6thrust23THRUST_200600_302600_NS11hip_rocprim14__parallel_for6kernelILj256ENS1_20__uninitialized_fill7functorINS0_10device_ptrIfEEfEEmLj1EEEvT0_T1_SA_,"axG",@progbits,_ZN6thrust23THRUST_200600_302600_NS11hip_rocprim14__parallel_for6kernelILj256ENS1_20__uninitialized_fill7functorINS0_10device_ptrIfEEfEEmLj1EEEvT0_T1_SA_,comdat
.Lfunc_end0:
	.size	_ZN6thrust23THRUST_200600_302600_NS11hip_rocprim14__parallel_for6kernelILj256ENS1_20__uninitialized_fill7functorINS0_10device_ptrIfEEfEEmLj1EEEvT0_T1_SA_, .Lfunc_end0-_ZN6thrust23THRUST_200600_302600_NS11hip_rocprim14__parallel_for6kernelILj256ENS1_20__uninitialized_fill7functorINS0_10device_ptrIfEEfEEmLj1EEEvT0_T1_SA_
                                        ; -- End function
	.section	.AMDGPU.csdata,"",@progbits
; Kernel info:
; codeLenInByte = 160
; NumSgprs: 16
; NumVgprs: 4
; NumAgprs: 0
; TotalNumVgprs: 4
; ScratchSize: 0
; MemoryBound: 0
; FloatMode: 240
; IeeeMode: 1
; LDSByteSize: 0 bytes/workgroup (compile time only)
; SGPRBlocks: 1
; VGPRBlocks: 0
; NumSGPRsForWavesPerEU: 16
; NumVGPRsForWavesPerEU: 4
; AccumOffset: 4
; Occupancy: 8
; WaveLimiterHint : 0
; COMPUTE_PGM_RSRC2:SCRATCH_EN: 0
; COMPUTE_PGM_RSRC2:USER_SGPR: 6
; COMPUTE_PGM_RSRC2:TRAP_HANDLER: 0
; COMPUTE_PGM_RSRC2:TGID_X_EN: 1
; COMPUTE_PGM_RSRC2:TGID_Y_EN: 0
; COMPUTE_PGM_RSRC2:TGID_Z_EN: 0
; COMPUTE_PGM_RSRC2:TIDIG_COMP_CNT: 0
; COMPUTE_PGM_RSRC3_GFX90A:ACCUM_OFFSET: 0
; COMPUTE_PGM_RSRC3_GFX90A:TG_SPLIT: 0
	.section	.text._ZN7rocprim17ROCPRIM_400000_NS6detail17trampoline_kernelINS0_14default_configENS1_22reduce_config_selectorIN6thrust23THRUST_200600_302600_NS5tupleIbffNS6_9null_typeES8_S8_S8_S8_S8_S8_EEEEZNS1_11reduce_implILb1ES3_PS9_SC_S9_12reduce_tupleIifEEE10hipError_tPvRmT1_T2_T3_mT4_P12ihipStream_tbEUlT_E0_NS1_11comp_targetILNS1_3genE0ELNS1_11target_archE4294967295ELNS1_3gpuE0ELNS1_3repE0EEENS1_30default_config_static_selectorELNS0_4arch9wavefront6targetE1EEEvSI_,"axG",@progbits,_ZN7rocprim17ROCPRIM_400000_NS6detail17trampoline_kernelINS0_14default_configENS1_22reduce_config_selectorIN6thrust23THRUST_200600_302600_NS5tupleIbffNS6_9null_typeES8_S8_S8_S8_S8_S8_EEEEZNS1_11reduce_implILb1ES3_PS9_SC_S9_12reduce_tupleIifEEE10hipError_tPvRmT1_T2_T3_mT4_P12ihipStream_tbEUlT_E0_NS1_11comp_targetILNS1_3genE0ELNS1_11target_archE4294967295ELNS1_3gpuE0ELNS1_3repE0EEENS1_30default_config_static_selectorELNS0_4arch9wavefront6targetE1EEEvSI_,comdat
	.protected	_ZN7rocprim17ROCPRIM_400000_NS6detail17trampoline_kernelINS0_14default_configENS1_22reduce_config_selectorIN6thrust23THRUST_200600_302600_NS5tupleIbffNS6_9null_typeES8_S8_S8_S8_S8_S8_EEEEZNS1_11reduce_implILb1ES3_PS9_SC_S9_12reduce_tupleIifEEE10hipError_tPvRmT1_T2_T3_mT4_P12ihipStream_tbEUlT_E0_NS1_11comp_targetILNS1_3genE0ELNS1_11target_archE4294967295ELNS1_3gpuE0ELNS1_3repE0EEENS1_30default_config_static_selectorELNS0_4arch9wavefront6targetE1EEEvSI_ ; -- Begin function _ZN7rocprim17ROCPRIM_400000_NS6detail17trampoline_kernelINS0_14default_configENS1_22reduce_config_selectorIN6thrust23THRUST_200600_302600_NS5tupleIbffNS6_9null_typeES8_S8_S8_S8_S8_S8_EEEEZNS1_11reduce_implILb1ES3_PS9_SC_S9_12reduce_tupleIifEEE10hipError_tPvRmT1_T2_T3_mT4_P12ihipStream_tbEUlT_E0_NS1_11comp_targetILNS1_3genE0ELNS1_11target_archE4294967295ELNS1_3gpuE0ELNS1_3repE0EEENS1_30default_config_static_selectorELNS0_4arch9wavefront6targetE1EEEvSI_
	.globl	_ZN7rocprim17ROCPRIM_400000_NS6detail17trampoline_kernelINS0_14default_configENS1_22reduce_config_selectorIN6thrust23THRUST_200600_302600_NS5tupleIbffNS6_9null_typeES8_S8_S8_S8_S8_S8_EEEEZNS1_11reduce_implILb1ES3_PS9_SC_S9_12reduce_tupleIifEEE10hipError_tPvRmT1_T2_T3_mT4_P12ihipStream_tbEUlT_E0_NS1_11comp_targetILNS1_3genE0ELNS1_11target_archE4294967295ELNS1_3gpuE0ELNS1_3repE0EEENS1_30default_config_static_selectorELNS0_4arch9wavefront6targetE1EEEvSI_
	.p2align	8
	.type	_ZN7rocprim17ROCPRIM_400000_NS6detail17trampoline_kernelINS0_14default_configENS1_22reduce_config_selectorIN6thrust23THRUST_200600_302600_NS5tupleIbffNS6_9null_typeES8_S8_S8_S8_S8_S8_EEEEZNS1_11reduce_implILb1ES3_PS9_SC_S9_12reduce_tupleIifEEE10hipError_tPvRmT1_T2_T3_mT4_P12ihipStream_tbEUlT_E0_NS1_11comp_targetILNS1_3genE0ELNS1_11target_archE4294967295ELNS1_3gpuE0ELNS1_3repE0EEENS1_30default_config_static_selectorELNS0_4arch9wavefront6targetE1EEEvSI_,@function
_ZN7rocprim17ROCPRIM_400000_NS6detail17trampoline_kernelINS0_14default_configENS1_22reduce_config_selectorIN6thrust23THRUST_200600_302600_NS5tupleIbffNS6_9null_typeES8_S8_S8_S8_S8_S8_EEEEZNS1_11reduce_implILb1ES3_PS9_SC_S9_12reduce_tupleIifEEE10hipError_tPvRmT1_T2_T3_mT4_P12ihipStream_tbEUlT_E0_NS1_11comp_targetILNS1_3genE0ELNS1_11target_archE4294967295ELNS1_3gpuE0ELNS1_3repE0EEENS1_30default_config_static_selectorELNS0_4arch9wavefront6targetE1EEEvSI_: ; @_ZN7rocprim17ROCPRIM_400000_NS6detail17trampoline_kernelINS0_14default_configENS1_22reduce_config_selectorIN6thrust23THRUST_200600_302600_NS5tupleIbffNS6_9null_typeES8_S8_S8_S8_S8_S8_EEEEZNS1_11reduce_implILb1ES3_PS9_SC_S9_12reduce_tupleIifEEE10hipError_tPvRmT1_T2_T3_mT4_P12ihipStream_tbEUlT_E0_NS1_11comp_targetILNS1_3genE0ELNS1_11target_archE4294967295ELNS1_3gpuE0ELNS1_3repE0EEENS1_30default_config_static_selectorELNS0_4arch9wavefront6targetE1EEEvSI_
; %bb.0:
	.section	.rodata,"a",@progbits
	.p2align	6, 0x0
	.amdhsa_kernel _ZN7rocprim17ROCPRIM_400000_NS6detail17trampoline_kernelINS0_14default_configENS1_22reduce_config_selectorIN6thrust23THRUST_200600_302600_NS5tupleIbffNS6_9null_typeES8_S8_S8_S8_S8_S8_EEEEZNS1_11reduce_implILb1ES3_PS9_SC_S9_12reduce_tupleIifEEE10hipError_tPvRmT1_T2_T3_mT4_P12ihipStream_tbEUlT_E0_NS1_11comp_targetILNS1_3genE0ELNS1_11target_archE4294967295ELNS1_3gpuE0ELNS1_3repE0EEENS1_30default_config_static_selectorELNS0_4arch9wavefront6targetE1EEEvSI_
		.amdhsa_group_segment_fixed_size 0
		.amdhsa_private_segment_fixed_size 0
		.amdhsa_kernarg_size 64
		.amdhsa_user_sgpr_count 6
		.amdhsa_user_sgpr_private_segment_buffer 1
		.amdhsa_user_sgpr_dispatch_ptr 0
		.amdhsa_user_sgpr_queue_ptr 0
		.amdhsa_user_sgpr_kernarg_segment_ptr 1
		.amdhsa_user_sgpr_dispatch_id 0
		.amdhsa_user_sgpr_flat_scratch_init 0
		.amdhsa_user_sgpr_kernarg_preload_length 0
		.amdhsa_user_sgpr_kernarg_preload_offset 0
		.amdhsa_user_sgpr_private_segment_size 0
		.amdhsa_uses_dynamic_stack 0
		.amdhsa_system_sgpr_private_segment_wavefront_offset 0
		.amdhsa_system_sgpr_workgroup_id_x 1
		.amdhsa_system_sgpr_workgroup_id_y 0
		.amdhsa_system_sgpr_workgroup_id_z 0
		.amdhsa_system_sgpr_workgroup_info 0
		.amdhsa_system_vgpr_workitem_id 0
		.amdhsa_next_free_vgpr 1
		.amdhsa_next_free_sgpr 0
		.amdhsa_accum_offset 4
		.amdhsa_reserve_vcc 0
		.amdhsa_reserve_flat_scratch 0
		.amdhsa_float_round_mode_32 0
		.amdhsa_float_round_mode_16_64 0
		.amdhsa_float_denorm_mode_32 3
		.amdhsa_float_denorm_mode_16_64 3
		.amdhsa_dx10_clamp 1
		.amdhsa_ieee_mode 1
		.amdhsa_fp16_overflow 0
		.amdhsa_tg_split 0
		.amdhsa_exception_fp_ieee_invalid_op 0
		.amdhsa_exception_fp_denorm_src 0
		.amdhsa_exception_fp_ieee_div_zero 0
		.amdhsa_exception_fp_ieee_overflow 0
		.amdhsa_exception_fp_ieee_underflow 0
		.amdhsa_exception_fp_ieee_inexact 0
		.amdhsa_exception_int_div_zero 0
	.end_amdhsa_kernel
	.section	.text._ZN7rocprim17ROCPRIM_400000_NS6detail17trampoline_kernelINS0_14default_configENS1_22reduce_config_selectorIN6thrust23THRUST_200600_302600_NS5tupleIbffNS6_9null_typeES8_S8_S8_S8_S8_S8_EEEEZNS1_11reduce_implILb1ES3_PS9_SC_S9_12reduce_tupleIifEEE10hipError_tPvRmT1_T2_T3_mT4_P12ihipStream_tbEUlT_E0_NS1_11comp_targetILNS1_3genE0ELNS1_11target_archE4294967295ELNS1_3gpuE0ELNS1_3repE0EEENS1_30default_config_static_selectorELNS0_4arch9wavefront6targetE1EEEvSI_,"axG",@progbits,_ZN7rocprim17ROCPRIM_400000_NS6detail17trampoline_kernelINS0_14default_configENS1_22reduce_config_selectorIN6thrust23THRUST_200600_302600_NS5tupleIbffNS6_9null_typeES8_S8_S8_S8_S8_S8_EEEEZNS1_11reduce_implILb1ES3_PS9_SC_S9_12reduce_tupleIifEEE10hipError_tPvRmT1_T2_T3_mT4_P12ihipStream_tbEUlT_E0_NS1_11comp_targetILNS1_3genE0ELNS1_11target_archE4294967295ELNS1_3gpuE0ELNS1_3repE0EEENS1_30default_config_static_selectorELNS0_4arch9wavefront6targetE1EEEvSI_,comdat
.Lfunc_end1:
	.size	_ZN7rocprim17ROCPRIM_400000_NS6detail17trampoline_kernelINS0_14default_configENS1_22reduce_config_selectorIN6thrust23THRUST_200600_302600_NS5tupleIbffNS6_9null_typeES8_S8_S8_S8_S8_S8_EEEEZNS1_11reduce_implILb1ES3_PS9_SC_S9_12reduce_tupleIifEEE10hipError_tPvRmT1_T2_T3_mT4_P12ihipStream_tbEUlT_E0_NS1_11comp_targetILNS1_3genE0ELNS1_11target_archE4294967295ELNS1_3gpuE0ELNS1_3repE0EEENS1_30default_config_static_selectorELNS0_4arch9wavefront6targetE1EEEvSI_, .Lfunc_end1-_ZN7rocprim17ROCPRIM_400000_NS6detail17trampoline_kernelINS0_14default_configENS1_22reduce_config_selectorIN6thrust23THRUST_200600_302600_NS5tupleIbffNS6_9null_typeES8_S8_S8_S8_S8_S8_EEEEZNS1_11reduce_implILb1ES3_PS9_SC_S9_12reduce_tupleIifEEE10hipError_tPvRmT1_T2_T3_mT4_P12ihipStream_tbEUlT_E0_NS1_11comp_targetILNS1_3genE0ELNS1_11target_archE4294967295ELNS1_3gpuE0ELNS1_3repE0EEENS1_30default_config_static_selectorELNS0_4arch9wavefront6targetE1EEEvSI_
                                        ; -- End function
	.section	.AMDGPU.csdata,"",@progbits
; Kernel info:
; codeLenInByte = 0
; NumSgprs: 4
; NumVgprs: 0
; NumAgprs: 0
; TotalNumVgprs: 0
; ScratchSize: 0
; MemoryBound: 0
; FloatMode: 240
; IeeeMode: 1
; LDSByteSize: 0 bytes/workgroup (compile time only)
; SGPRBlocks: 0
; VGPRBlocks: 0
; NumSGPRsForWavesPerEU: 4
; NumVGPRsForWavesPerEU: 1
; AccumOffset: 4
; Occupancy: 8
; WaveLimiterHint : 0
; COMPUTE_PGM_RSRC2:SCRATCH_EN: 0
; COMPUTE_PGM_RSRC2:USER_SGPR: 6
; COMPUTE_PGM_RSRC2:TRAP_HANDLER: 0
; COMPUTE_PGM_RSRC2:TGID_X_EN: 1
; COMPUTE_PGM_RSRC2:TGID_Y_EN: 0
; COMPUTE_PGM_RSRC2:TGID_Z_EN: 0
; COMPUTE_PGM_RSRC2:TIDIG_COMP_CNT: 0
; COMPUTE_PGM_RSRC3_GFX90A:ACCUM_OFFSET: 0
; COMPUTE_PGM_RSRC3_GFX90A:TG_SPLIT: 0
	.section	.text._ZN7rocprim17ROCPRIM_400000_NS6detail17trampoline_kernelINS0_14default_configENS1_22reduce_config_selectorIN6thrust23THRUST_200600_302600_NS5tupleIbffNS6_9null_typeES8_S8_S8_S8_S8_S8_EEEEZNS1_11reduce_implILb1ES3_PS9_SC_S9_12reduce_tupleIifEEE10hipError_tPvRmT1_T2_T3_mT4_P12ihipStream_tbEUlT_E0_NS1_11comp_targetILNS1_3genE5ELNS1_11target_archE942ELNS1_3gpuE9ELNS1_3repE0EEENS1_30default_config_static_selectorELNS0_4arch9wavefront6targetE1EEEvSI_,"axG",@progbits,_ZN7rocprim17ROCPRIM_400000_NS6detail17trampoline_kernelINS0_14default_configENS1_22reduce_config_selectorIN6thrust23THRUST_200600_302600_NS5tupleIbffNS6_9null_typeES8_S8_S8_S8_S8_S8_EEEEZNS1_11reduce_implILb1ES3_PS9_SC_S9_12reduce_tupleIifEEE10hipError_tPvRmT1_T2_T3_mT4_P12ihipStream_tbEUlT_E0_NS1_11comp_targetILNS1_3genE5ELNS1_11target_archE942ELNS1_3gpuE9ELNS1_3repE0EEENS1_30default_config_static_selectorELNS0_4arch9wavefront6targetE1EEEvSI_,comdat
	.protected	_ZN7rocprim17ROCPRIM_400000_NS6detail17trampoline_kernelINS0_14default_configENS1_22reduce_config_selectorIN6thrust23THRUST_200600_302600_NS5tupleIbffNS6_9null_typeES8_S8_S8_S8_S8_S8_EEEEZNS1_11reduce_implILb1ES3_PS9_SC_S9_12reduce_tupleIifEEE10hipError_tPvRmT1_T2_T3_mT4_P12ihipStream_tbEUlT_E0_NS1_11comp_targetILNS1_3genE5ELNS1_11target_archE942ELNS1_3gpuE9ELNS1_3repE0EEENS1_30default_config_static_selectorELNS0_4arch9wavefront6targetE1EEEvSI_ ; -- Begin function _ZN7rocprim17ROCPRIM_400000_NS6detail17trampoline_kernelINS0_14default_configENS1_22reduce_config_selectorIN6thrust23THRUST_200600_302600_NS5tupleIbffNS6_9null_typeES8_S8_S8_S8_S8_S8_EEEEZNS1_11reduce_implILb1ES3_PS9_SC_S9_12reduce_tupleIifEEE10hipError_tPvRmT1_T2_T3_mT4_P12ihipStream_tbEUlT_E0_NS1_11comp_targetILNS1_3genE5ELNS1_11target_archE942ELNS1_3gpuE9ELNS1_3repE0EEENS1_30default_config_static_selectorELNS0_4arch9wavefront6targetE1EEEvSI_
	.globl	_ZN7rocprim17ROCPRIM_400000_NS6detail17trampoline_kernelINS0_14default_configENS1_22reduce_config_selectorIN6thrust23THRUST_200600_302600_NS5tupleIbffNS6_9null_typeES8_S8_S8_S8_S8_S8_EEEEZNS1_11reduce_implILb1ES3_PS9_SC_S9_12reduce_tupleIifEEE10hipError_tPvRmT1_T2_T3_mT4_P12ihipStream_tbEUlT_E0_NS1_11comp_targetILNS1_3genE5ELNS1_11target_archE942ELNS1_3gpuE9ELNS1_3repE0EEENS1_30default_config_static_selectorELNS0_4arch9wavefront6targetE1EEEvSI_
	.p2align	8
	.type	_ZN7rocprim17ROCPRIM_400000_NS6detail17trampoline_kernelINS0_14default_configENS1_22reduce_config_selectorIN6thrust23THRUST_200600_302600_NS5tupleIbffNS6_9null_typeES8_S8_S8_S8_S8_S8_EEEEZNS1_11reduce_implILb1ES3_PS9_SC_S9_12reduce_tupleIifEEE10hipError_tPvRmT1_T2_T3_mT4_P12ihipStream_tbEUlT_E0_NS1_11comp_targetILNS1_3genE5ELNS1_11target_archE942ELNS1_3gpuE9ELNS1_3repE0EEENS1_30default_config_static_selectorELNS0_4arch9wavefront6targetE1EEEvSI_,@function
_ZN7rocprim17ROCPRIM_400000_NS6detail17trampoline_kernelINS0_14default_configENS1_22reduce_config_selectorIN6thrust23THRUST_200600_302600_NS5tupleIbffNS6_9null_typeES8_S8_S8_S8_S8_S8_EEEEZNS1_11reduce_implILb1ES3_PS9_SC_S9_12reduce_tupleIifEEE10hipError_tPvRmT1_T2_T3_mT4_P12ihipStream_tbEUlT_E0_NS1_11comp_targetILNS1_3genE5ELNS1_11target_archE942ELNS1_3gpuE9ELNS1_3repE0EEENS1_30default_config_static_selectorELNS0_4arch9wavefront6targetE1EEEvSI_: ; @_ZN7rocprim17ROCPRIM_400000_NS6detail17trampoline_kernelINS0_14default_configENS1_22reduce_config_selectorIN6thrust23THRUST_200600_302600_NS5tupleIbffNS6_9null_typeES8_S8_S8_S8_S8_S8_EEEEZNS1_11reduce_implILb1ES3_PS9_SC_S9_12reduce_tupleIifEEE10hipError_tPvRmT1_T2_T3_mT4_P12ihipStream_tbEUlT_E0_NS1_11comp_targetILNS1_3genE5ELNS1_11target_archE942ELNS1_3gpuE9ELNS1_3repE0EEENS1_30default_config_static_selectorELNS0_4arch9wavefront6targetE1EEEvSI_
; %bb.0:
	.section	.rodata,"a",@progbits
	.p2align	6, 0x0
	.amdhsa_kernel _ZN7rocprim17ROCPRIM_400000_NS6detail17trampoline_kernelINS0_14default_configENS1_22reduce_config_selectorIN6thrust23THRUST_200600_302600_NS5tupleIbffNS6_9null_typeES8_S8_S8_S8_S8_S8_EEEEZNS1_11reduce_implILb1ES3_PS9_SC_S9_12reduce_tupleIifEEE10hipError_tPvRmT1_T2_T3_mT4_P12ihipStream_tbEUlT_E0_NS1_11comp_targetILNS1_3genE5ELNS1_11target_archE942ELNS1_3gpuE9ELNS1_3repE0EEENS1_30default_config_static_selectorELNS0_4arch9wavefront6targetE1EEEvSI_
		.amdhsa_group_segment_fixed_size 0
		.amdhsa_private_segment_fixed_size 0
		.amdhsa_kernarg_size 64
		.amdhsa_user_sgpr_count 6
		.amdhsa_user_sgpr_private_segment_buffer 1
		.amdhsa_user_sgpr_dispatch_ptr 0
		.amdhsa_user_sgpr_queue_ptr 0
		.amdhsa_user_sgpr_kernarg_segment_ptr 1
		.amdhsa_user_sgpr_dispatch_id 0
		.amdhsa_user_sgpr_flat_scratch_init 0
		.amdhsa_user_sgpr_kernarg_preload_length 0
		.amdhsa_user_sgpr_kernarg_preload_offset 0
		.amdhsa_user_sgpr_private_segment_size 0
		.amdhsa_uses_dynamic_stack 0
		.amdhsa_system_sgpr_private_segment_wavefront_offset 0
		.amdhsa_system_sgpr_workgroup_id_x 1
		.amdhsa_system_sgpr_workgroup_id_y 0
		.amdhsa_system_sgpr_workgroup_id_z 0
		.amdhsa_system_sgpr_workgroup_info 0
		.amdhsa_system_vgpr_workitem_id 0
		.amdhsa_next_free_vgpr 1
		.amdhsa_next_free_sgpr 0
		.amdhsa_accum_offset 4
		.amdhsa_reserve_vcc 0
		.amdhsa_reserve_flat_scratch 0
		.amdhsa_float_round_mode_32 0
		.amdhsa_float_round_mode_16_64 0
		.amdhsa_float_denorm_mode_32 3
		.amdhsa_float_denorm_mode_16_64 3
		.amdhsa_dx10_clamp 1
		.amdhsa_ieee_mode 1
		.amdhsa_fp16_overflow 0
		.amdhsa_tg_split 0
		.amdhsa_exception_fp_ieee_invalid_op 0
		.amdhsa_exception_fp_denorm_src 0
		.amdhsa_exception_fp_ieee_div_zero 0
		.amdhsa_exception_fp_ieee_overflow 0
		.amdhsa_exception_fp_ieee_underflow 0
		.amdhsa_exception_fp_ieee_inexact 0
		.amdhsa_exception_int_div_zero 0
	.end_amdhsa_kernel
	.section	.text._ZN7rocprim17ROCPRIM_400000_NS6detail17trampoline_kernelINS0_14default_configENS1_22reduce_config_selectorIN6thrust23THRUST_200600_302600_NS5tupleIbffNS6_9null_typeES8_S8_S8_S8_S8_S8_EEEEZNS1_11reduce_implILb1ES3_PS9_SC_S9_12reduce_tupleIifEEE10hipError_tPvRmT1_T2_T3_mT4_P12ihipStream_tbEUlT_E0_NS1_11comp_targetILNS1_3genE5ELNS1_11target_archE942ELNS1_3gpuE9ELNS1_3repE0EEENS1_30default_config_static_selectorELNS0_4arch9wavefront6targetE1EEEvSI_,"axG",@progbits,_ZN7rocprim17ROCPRIM_400000_NS6detail17trampoline_kernelINS0_14default_configENS1_22reduce_config_selectorIN6thrust23THRUST_200600_302600_NS5tupleIbffNS6_9null_typeES8_S8_S8_S8_S8_S8_EEEEZNS1_11reduce_implILb1ES3_PS9_SC_S9_12reduce_tupleIifEEE10hipError_tPvRmT1_T2_T3_mT4_P12ihipStream_tbEUlT_E0_NS1_11comp_targetILNS1_3genE5ELNS1_11target_archE942ELNS1_3gpuE9ELNS1_3repE0EEENS1_30default_config_static_selectorELNS0_4arch9wavefront6targetE1EEEvSI_,comdat
.Lfunc_end2:
	.size	_ZN7rocprim17ROCPRIM_400000_NS6detail17trampoline_kernelINS0_14default_configENS1_22reduce_config_selectorIN6thrust23THRUST_200600_302600_NS5tupleIbffNS6_9null_typeES8_S8_S8_S8_S8_S8_EEEEZNS1_11reduce_implILb1ES3_PS9_SC_S9_12reduce_tupleIifEEE10hipError_tPvRmT1_T2_T3_mT4_P12ihipStream_tbEUlT_E0_NS1_11comp_targetILNS1_3genE5ELNS1_11target_archE942ELNS1_3gpuE9ELNS1_3repE0EEENS1_30default_config_static_selectorELNS0_4arch9wavefront6targetE1EEEvSI_, .Lfunc_end2-_ZN7rocprim17ROCPRIM_400000_NS6detail17trampoline_kernelINS0_14default_configENS1_22reduce_config_selectorIN6thrust23THRUST_200600_302600_NS5tupleIbffNS6_9null_typeES8_S8_S8_S8_S8_S8_EEEEZNS1_11reduce_implILb1ES3_PS9_SC_S9_12reduce_tupleIifEEE10hipError_tPvRmT1_T2_T3_mT4_P12ihipStream_tbEUlT_E0_NS1_11comp_targetILNS1_3genE5ELNS1_11target_archE942ELNS1_3gpuE9ELNS1_3repE0EEENS1_30default_config_static_selectorELNS0_4arch9wavefront6targetE1EEEvSI_
                                        ; -- End function
	.section	.AMDGPU.csdata,"",@progbits
; Kernel info:
; codeLenInByte = 0
; NumSgprs: 4
; NumVgprs: 0
; NumAgprs: 0
; TotalNumVgprs: 0
; ScratchSize: 0
; MemoryBound: 0
; FloatMode: 240
; IeeeMode: 1
; LDSByteSize: 0 bytes/workgroup (compile time only)
; SGPRBlocks: 0
; VGPRBlocks: 0
; NumSGPRsForWavesPerEU: 4
; NumVGPRsForWavesPerEU: 1
; AccumOffset: 4
; Occupancy: 8
; WaveLimiterHint : 0
; COMPUTE_PGM_RSRC2:SCRATCH_EN: 0
; COMPUTE_PGM_RSRC2:USER_SGPR: 6
; COMPUTE_PGM_RSRC2:TRAP_HANDLER: 0
; COMPUTE_PGM_RSRC2:TGID_X_EN: 1
; COMPUTE_PGM_RSRC2:TGID_Y_EN: 0
; COMPUTE_PGM_RSRC2:TGID_Z_EN: 0
; COMPUTE_PGM_RSRC2:TIDIG_COMP_CNT: 0
; COMPUTE_PGM_RSRC3_GFX90A:ACCUM_OFFSET: 0
; COMPUTE_PGM_RSRC3_GFX90A:TG_SPLIT: 0
	.section	.text._ZN7rocprim17ROCPRIM_400000_NS6detail17trampoline_kernelINS0_14default_configENS1_22reduce_config_selectorIN6thrust23THRUST_200600_302600_NS5tupleIbffNS6_9null_typeES8_S8_S8_S8_S8_S8_EEEEZNS1_11reduce_implILb1ES3_PS9_SC_S9_12reduce_tupleIifEEE10hipError_tPvRmT1_T2_T3_mT4_P12ihipStream_tbEUlT_E0_NS1_11comp_targetILNS1_3genE4ELNS1_11target_archE910ELNS1_3gpuE8ELNS1_3repE0EEENS1_30default_config_static_selectorELNS0_4arch9wavefront6targetE1EEEvSI_,"axG",@progbits,_ZN7rocprim17ROCPRIM_400000_NS6detail17trampoline_kernelINS0_14default_configENS1_22reduce_config_selectorIN6thrust23THRUST_200600_302600_NS5tupleIbffNS6_9null_typeES8_S8_S8_S8_S8_S8_EEEEZNS1_11reduce_implILb1ES3_PS9_SC_S9_12reduce_tupleIifEEE10hipError_tPvRmT1_T2_T3_mT4_P12ihipStream_tbEUlT_E0_NS1_11comp_targetILNS1_3genE4ELNS1_11target_archE910ELNS1_3gpuE8ELNS1_3repE0EEENS1_30default_config_static_selectorELNS0_4arch9wavefront6targetE1EEEvSI_,comdat
	.protected	_ZN7rocprim17ROCPRIM_400000_NS6detail17trampoline_kernelINS0_14default_configENS1_22reduce_config_selectorIN6thrust23THRUST_200600_302600_NS5tupleIbffNS6_9null_typeES8_S8_S8_S8_S8_S8_EEEEZNS1_11reduce_implILb1ES3_PS9_SC_S9_12reduce_tupleIifEEE10hipError_tPvRmT1_T2_T3_mT4_P12ihipStream_tbEUlT_E0_NS1_11comp_targetILNS1_3genE4ELNS1_11target_archE910ELNS1_3gpuE8ELNS1_3repE0EEENS1_30default_config_static_selectorELNS0_4arch9wavefront6targetE1EEEvSI_ ; -- Begin function _ZN7rocprim17ROCPRIM_400000_NS6detail17trampoline_kernelINS0_14default_configENS1_22reduce_config_selectorIN6thrust23THRUST_200600_302600_NS5tupleIbffNS6_9null_typeES8_S8_S8_S8_S8_S8_EEEEZNS1_11reduce_implILb1ES3_PS9_SC_S9_12reduce_tupleIifEEE10hipError_tPvRmT1_T2_T3_mT4_P12ihipStream_tbEUlT_E0_NS1_11comp_targetILNS1_3genE4ELNS1_11target_archE910ELNS1_3gpuE8ELNS1_3repE0EEENS1_30default_config_static_selectorELNS0_4arch9wavefront6targetE1EEEvSI_
	.globl	_ZN7rocprim17ROCPRIM_400000_NS6detail17trampoline_kernelINS0_14default_configENS1_22reduce_config_selectorIN6thrust23THRUST_200600_302600_NS5tupleIbffNS6_9null_typeES8_S8_S8_S8_S8_S8_EEEEZNS1_11reduce_implILb1ES3_PS9_SC_S9_12reduce_tupleIifEEE10hipError_tPvRmT1_T2_T3_mT4_P12ihipStream_tbEUlT_E0_NS1_11comp_targetILNS1_3genE4ELNS1_11target_archE910ELNS1_3gpuE8ELNS1_3repE0EEENS1_30default_config_static_selectorELNS0_4arch9wavefront6targetE1EEEvSI_
	.p2align	8
	.type	_ZN7rocprim17ROCPRIM_400000_NS6detail17trampoline_kernelINS0_14default_configENS1_22reduce_config_selectorIN6thrust23THRUST_200600_302600_NS5tupleIbffNS6_9null_typeES8_S8_S8_S8_S8_S8_EEEEZNS1_11reduce_implILb1ES3_PS9_SC_S9_12reduce_tupleIifEEE10hipError_tPvRmT1_T2_T3_mT4_P12ihipStream_tbEUlT_E0_NS1_11comp_targetILNS1_3genE4ELNS1_11target_archE910ELNS1_3gpuE8ELNS1_3repE0EEENS1_30default_config_static_selectorELNS0_4arch9wavefront6targetE1EEEvSI_,@function
_ZN7rocprim17ROCPRIM_400000_NS6detail17trampoline_kernelINS0_14default_configENS1_22reduce_config_selectorIN6thrust23THRUST_200600_302600_NS5tupleIbffNS6_9null_typeES8_S8_S8_S8_S8_S8_EEEEZNS1_11reduce_implILb1ES3_PS9_SC_S9_12reduce_tupleIifEEE10hipError_tPvRmT1_T2_T3_mT4_P12ihipStream_tbEUlT_E0_NS1_11comp_targetILNS1_3genE4ELNS1_11target_archE910ELNS1_3gpuE8ELNS1_3repE0EEENS1_30default_config_static_selectorELNS0_4arch9wavefront6targetE1EEEvSI_: ; @_ZN7rocprim17ROCPRIM_400000_NS6detail17trampoline_kernelINS0_14default_configENS1_22reduce_config_selectorIN6thrust23THRUST_200600_302600_NS5tupleIbffNS6_9null_typeES8_S8_S8_S8_S8_S8_EEEEZNS1_11reduce_implILb1ES3_PS9_SC_S9_12reduce_tupleIifEEE10hipError_tPvRmT1_T2_T3_mT4_P12ihipStream_tbEUlT_E0_NS1_11comp_targetILNS1_3genE4ELNS1_11target_archE910ELNS1_3gpuE8ELNS1_3repE0EEENS1_30default_config_static_selectorELNS0_4arch9wavefront6targetE1EEEvSI_
; %bb.0:
	s_load_dwordx8 s[8:15], s[4:5], 0x0
	s_load_dwordx4 s[0:3], s[4:5], 0x20
	s_mul_i32 s16, s6, 0x1800
	s_waitcnt lgkmcnt(0)
	s_mul_i32 s7, s11, 12
	s_mul_hi_u32 s11, s10, 12
	s_add_i32 s11, s11, s7
	s_mul_i32 s7, s10, 12
	s_add_u32 s10, s8, s7
	s_addc_u32 s11, s9, s11
	s_lshl_b32 s20, s6, 9
	s_lshr_b64 s[8:9], s[12:13], 9
	s_mul_hi_u32 s17, s20, 12
	s_add_u32 s10, s10, s16
	s_mov_b32 s7, 0
	s_addc_u32 s11, s11, s17
	s_cmp_lg_u64 s[8:9], s[6:7]
	s_cbranch_scc0 .LBB3_42
; %bb.1:
	v_mad_u64_u32 v[4:5], s[8:9], v0, 12, s[10:11]
	global_load_ubyte v6, v[4:5], off
	global_load_ubyte v1, v[4:5], off offset:3072
	global_load_dwordx2 v[2:3], v[4:5], off offset:3076
	s_waitcnt vmcnt(2)
	v_and_b32_e32 v7, 1, v6
	v_cmp_eq_u32_e32 vcc, 1, v7
	s_and_saveexec_b64 s[8:9], vcc
	s_cbranch_execz .LBB3_5
; %bb.2:
	global_load_dwordx2 v[4:5], v[4:5], off offset:4
	s_waitcnt vmcnt(2)
	v_and_b32_e32 v1, 1, v1
	v_cmp_eq_u32_e32 vcc, 1, v1
	s_and_saveexec_b64 s[16:17], vcc
	s_cbranch_execz .LBB3_4
; %bb.3:
	s_waitcnt vmcnt(0)
	v_cmp_lt_f32_e32 vcc, v5, v3
	v_cndmask_b32_e32 v5, v5, v3, vcc
	v_cmp_lt_f32_e32 vcc, v2, v4
	v_cndmask_b32_e32 v4, v4, v2, vcc
	v_mov_b32_e32 v6, 1
.LBB3_4:
	s_or_b64 exec, exec, s[16:17]
	v_mov_b32_e32 v1, v6
	s_waitcnt vmcnt(0)
	v_pk_mov_b32 v[2:3], v[4:5], v[4:5] op_sel:[0,1]
.LBB3_5:
	s_or_b64 exec, exec, s[8:9]
	s_waitcnt vmcnt(1)
	v_and_b32_e32 v4, 0xff, v1
	s_waitcnt vmcnt(0)
	v_mov_b32_dpp v5, v3 quad_perm:[1,0,3,2] row_mask:0xf bank_mask:0xf bound_ctrl:1
	v_mov_b32_dpp v6, v4 quad_perm:[1,0,3,2] row_mask:0xf bank_mask:0xf bound_ctrl:1
	v_and_b32_e32 v7, 1, v6
	v_mov_b32_dpp v4, v2 quad_perm:[1,0,3,2] row_mask:0xf bank_mask:0xf bound_ctrl:1
	v_cmp_eq_u32_e32 vcc, 1, v7
	s_and_saveexec_b64 s[8:9], vcc
	s_cbranch_execz .LBB3_9
; %bb.6:
	v_and_b32_e32 v1, 1, v1
	v_cmp_eq_u32_e32 vcc, 1, v1
	s_and_saveexec_b64 s[16:17], vcc
; %bb.7:
	v_cmp_gt_f32_e32 vcc, v3, v5
	v_cndmask_b32_e32 v5, v5, v3, vcc
	v_cmp_lt_f32_e32 vcc, v2, v4
	v_cndmask_b32_e32 v4, v4, v2, vcc
	v_mov_b32_e32 v6, 1
; %bb.8:
	s_or_b64 exec, exec, s[16:17]
	v_mov_b32_e32 v1, v6
	v_pk_mov_b32 v[2:3], v[4:5], v[4:5] op_sel:[0,1]
.LBB3_9:
	s_or_b64 exec, exec, s[8:9]
	v_and_b32_e32 v4, 0xff, v1
	v_mov_b32_dpp v5, v3 quad_perm:[2,3,0,1] row_mask:0xf bank_mask:0xf bound_ctrl:1
	s_nop 0
	v_mov_b32_dpp v6, v4 quad_perm:[2,3,0,1] row_mask:0xf bank_mask:0xf bound_ctrl:1
	v_and_b32_e32 v7, 1, v6
	v_mov_b32_dpp v4, v2 quad_perm:[2,3,0,1] row_mask:0xf bank_mask:0xf bound_ctrl:1
	v_cmp_eq_u32_e32 vcc, 1, v7
	s_and_saveexec_b64 s[8:9], vcc
	s_cbranch_execz .LBB3_13
; %bb.10:
	v_and_b32_e32 v1, 1, v1
	v_cmp_eq_u32_e32 vcc, 1, v1
	s_and_saveexec_b64 s[16:17], vcc
; %bb.11:
	v_cmp_lt_f32_e32 vcc, v5, v3
	v_cndmask_b32_e32 v5, v5, v3, vcc
	v_cmp_lt_f32_e32 vcc, v2, v4
	v_cndmask_b32_e32 v4, v4, v2, vcc
	v_mov_b32_e32 v6, 1
; %bb.12:
	s_or_b64 exec, exec, s[16:17]
	v_mov_b32_e32 v1, v6
	v_pk_mov_b32 v[2:3], v[4:5], v[4:5] op_sel:[0,1]
.LBB3_13:
	s_or_b64 exec, exec, s[8:9]
	v_and_b32_e32 v4, 0xff, v1
	v_mov_b32_dpp v5, v3 row_ror:4 row_mask:0xf bank_mask:0xf bound_ctrl:1
	s_nop 0
	v_mov_b32_dpp v6, v4 row_ror:4 row_mask:0xf bank_mask:0xf bound_ctrl:1
	v_and_b32_e32 v7, 1, v6
	v_mov_b32_dpp v4, v2 row_ror:4 row_mask:0xf bank_mask:0xf bound_ctrl:1
	v_cmp_eq_u32_e32 vcc, 1, v7
	s_and_saveexec_b64 s[8:9], vcc
	s_cbranch_execz .LBB3_17
; %bb.14:
	v_and_b32_e32 v1, 1, v1
	v_cmp_eq_u32_e32 vcc, 1, v1
	s_and_saveexec_b64 s[16:17], vcc
; %bb.15:
	v_cmp_lt_f32_e32 vcc, v5, v3
	v_cndmask_b32_e32 v5, v5, v3, vcc
	v_cmp_lt_f32_e32 vcc, v2, v4
	v_cndmask_b32_e32 v4, v4, v2, vcc
	v_mov_b32_e32 v6, 1
; %bb.16:
	s_or_b64 exec, exec, s[16:17]
	v_mov_b32_e32 v1, v6
	v_pk_mov_b32 v[2:3], v[4:5], v[4:5] op_sel:[0,1]
.LBB3_17:
	s_or_b64 exec, exec, s[8:9]
	v_and_b32_e32 v4, 0xff, v1
	v_mov_b32_dpp v5, v3 row_ror:8 row_mask:0xf bank_mask:0xf bound_ctrl:1
	s_nop 0
	v_mov_b32_dpp v6, v4 row_ror:8 row_mask:0xf bank_mask:0xf bound_ctrl:1
	v_and_b32_e32 v7, 1, v6
	v_mov_b32_dpp v4, v2 row_ror:8 row_mask:0xf bank_mask:0xf bound_ctrl:1
	v_cmp_eq_u32_e32 vcc, 1, v7
	s_and_saveexec_b64 s[8:9], vcc
	s_cbranch_execz .LBB3_21
; %bb.18:
	v_and_b32_e32 v1, 1, v1
	v_cmp_eq_u32_e32 vcc, 1, v1
	s_and_saveexec_b64 s[16:17], vcc
; %bb.19:
	v_cmp_lt_f32_e32 vcc, v5, v3
	v_cndmask_b32_e32 v5, v5, v3, vcc
	v_cmp_lt_f32_e32 vcc, v2, v4
	v_cndmask_b32_e32 v4, v4, v2, vcc
	v_mov_b32_e32 v6, 1
; %bb.20:
	s_or_b64 exec, exec, s[16:17]
	v_mov_b32_e32 v1, v6
	v_pk_mov_b32 v[2:3], v[4:5], v[4:5] op_sel:[0,1]
.LBB3_21:
	s_or_b64 exec, exec, s[8:9]
	v_and_b32_e32 v4, 0xff, v1
	v_mov_b32_dpp v5, v3 row_bcast:15 row_mask:0xf bank_mask:0xf bound_ctrl:1
	s_nop 0
	v_mov_b32_dpp v6, v4 row_bcast:15 row_mask:0xf bank_mask:0xf bound_ctrl:1
	v_and_b32_e32 v7, 1, v6
	v_mov_b32_dpp v4, v2 row_bcast:15 row_mask:0xf bank_mask:0xf bound_ctrl:1
	v_cmp_eq_u32_e32 vcc, 1, v7
	s_and_saveexec_b64 s[8:9], vcc
	s_cbranch_execz .LBB3_25
; %bb.22:
	v_and_b32_e32 v1, 1, v1
	v_cmp_eq_u32_e32 vcc, 1, v1
	s_and_saveexec_b64 s[16:17], vcc
; %bb.23:
	v_cmp_lt_f32_e32 vcc, v5, v3
	v_cndmask_b32_e32 v5, v5, v3, vcc
	v_cmp_lt_f32_e32 vcc, v2, v4
	v_cndmask_b32_e32 v4, v4, v2, vcc
	v_mov_b32_e32 v6, 1
; %bb.24:
	s_or_b64 exec, exec, s[16:17]
	v_mov_b32_e32 v1, v6
	v_pk_mov_b32 v[2:3], v[4:5], v[4:5] op_sel:[0,1]
.LBB3_25:
	s_or_b64 exec, exec, s[8:9]
	v_and_b32_e32 v4, 0xff, v1
	v_mov_b32_dpp v5, v3 row_bcast:31 row_mask:0xf bank_mask:0xf bound_ctrl:1
	s_nop 0
	v_mov_b32_dpp v6, v4 row_bcast:31 row_mask:0xf bank_mask:0xf bound_ctrl:1
	v_and_b32_e32 v7, 1, v6
	v_mov_b32_dpp v4, v2 row_bcast:31 row_mask:0xf bank_mask:0xf bound_ctrl:1
	v_cmp_eq_u32_e32 vcc, 1, v7
	s_and_saveexec_b64 s[8:9], vcc
	s_cbranch_execz .LBB3_29
; %bb.26:
	v_and_b32_e32 v1, 1, v1
	v_cmp_eq_u32_e32 vcc, 1, v1
	s_and_saveexec_b64 s[16:17], vcc
; %bb.27:
	v_cmp_lt_f32_e32 vcc, v5, v3
	v_cndmask_b32_e32 v5, v5, v3, vcc
	v_cmp_lt_f32_e32 vcc, v2, v4
	v_cndmask_b32_e32 v4, v4, v2, vcc
	v_mov_b32_e32 v6, 1
; %bb.28:
	s_or_b64 exec, exec, s[16:17]
	v_mov_b32_e32 v1, v6
	v_pk_mov_b32 v[2:3], v[4:5], v[4:5] op_sel:[0,1]
.LBB3_29:
	s_or_b64 exec, exec, s[8:9]
	v_mbcnt_lo_u32_b32 v4, -1, 0
	v_mbcnt_hi_u32_b32 v6, -1, v4
	v_bfrev_b32_e32 v4, 0.5
	v_and_b32_e32 v1, 0xff, v1
	v_lshl_or_b32 v4, v6, 2, v4
	ds_bpermute_b32 v9, v4, v1
	ds_bpermute_b32 v2, v4, v2
	;; [unrolled: 1-line block ×3, first 2 shown]
	v_cmp_eq_u32_e32 vcc, 0, v6
	s_and_saveexec_b64 s[8:9], vcc
	s_cbranch_execz .LBB3_31
; %bb.30:
	v_lshrrev_b32_e32 v1, 6, v0
	v_mul_u32_u24_e32 v1, 12, v1
	s_waitcnt lgkmcnt(2)
	ds_write_b8 v1, v9 offset:48
	s_waitcnt lgkmcnt(1)
	ds_write2_b32 v1, v2, v3 offset0:13 offset1:14
.LBB3_31:
	s_or_b64 exec, exec, s[8:9]
	v_cmp_gt_u32_e32 vcc, 64, v0
	s_waitcnt lgkmcnt(0)
	s_barrier
	s_and_saveexec_b64 s[8:9], vcc
	s_cbranch_execz .LBB3_41
; %bb.32:
	v_and_b32_e32 v7, 3, v6
	v_mul_u32_u24_e32 v1, 12, v7
	ds_read_u8 v8, v1 offset:48
	ds_read2_b32 v[2:3], v1 offset0:13 offset1:14
	v_cmp_ne_u32_e32 vcc, 3, v7
	v_addc_co_u32_e32 v1, vcc, 0, v6, vcc
	s_waitcnt lgkmcnt(1)
	v_and_b32_e32 v4, 0xff, v8
	v_lshlrev_b32_e32 v5, 2, v1
	ds_bpermute_b32 v1, v5, v4
	s_waitcnt lgkmcnt(1)
	ds_bpermute_b32 v4, v5, v2
	ds_bpermute_b32 v5, v5, v3
	v_and_b32_e32 v9, 1, v8
	v_cmp_eq_u32_e32 vcc, 1, v9
	s_and_saveexec_b64 s[16:17], vcc
	s_cbranch_execz .LBB3_36
; %bb.33:
	s_waitcnt lgkmcnt(2)
	v_and_b32_e32 v1, 1, v1
	v_cmp_eq_u32_e32 vcc, 1, v1
	s_and_saveexec_b64 s[18:19], vcc
	s_cbranch_execz .LBB3_35
; %bb.34:
	s_waitcnt lgkmcnt(0)
	v_cmp_gt_f32_e32 vcc, v5, v3
	v_cndmask_b32_e32 v3, v3, v5, vcc
	v_cmp_gt_f32_e32 vcc, v2, v4
	v_cndmask_b32_e32 v2, v2, v4, vcc
	v_mov_b32_e32 v8, 1
.LBB3_35:
	s_or_b64 exec, exec, s[18:19]
	v_mov_b32_e32 v1, v8
	s_waitcnt lgkmcnt(0)
	v_pk_mov_b32 v[4:5], v[2:3], v[2:3] op_sel:[0,1]
.LBB3_36:
	s_or_b64 exec, exec, s[16:17]
	v_cmp_gt_u32_e32 vcc, 2, v7
	v_cndmask_b32_e64 v3, 0, 1, vcc
	v_lshlrev_b32_e32 v3, 1, v3
	s_waitcnt lgkmcnt(2)
	v_and_b32_e32 v2, 0xff, v1
	v_add_lshl_u32 v3, v3, v6, 2
	ds_bpermute_b32 v6, v3, v2
	s_waitcnt lgkmcnt(2)
	ds_bpermute_b32 v2, v3, v4
	s_waitcnt lgkmcnt(2)
	ds_bpermute_b32 v3, v3, v5
	v_and_b32_e32 v7, 1, v1
	v_cmp_eq_u32_e32 vcc, 1, v7
	s_and_saveexec_b64 s[16:17], vcc
	s_cbranch_execz .LBB3_40
; %bb.37:
	s_waitcnt lgkmcnt(2)
	v_and_b32_e32 v6, 1, v6
	v_cmp_eq_u32_e32 vcc, 1, v6
	s_and_saveexec_b64 s[18:19], vcc
	s_cbranch_execz .LBB3_39
; %bb.38:
	s_waitcnt lgkmcnt(0)
	v_cmp_gt_f32_e32 vcc, v3, v5
	v_cndmask_b32_e32 v5, v5, v3, vcc
	v_cmp_gt_f32_e32 vcc, v4, v2
	v_cndmask_b32_e32 v4, v4, v2, vcc
	v_mov_b32_e32 v1, 1
.LBB3_39:
	s_or_b64 exec, exec, s[18:19]
	v_mov_b32_e32 v6, v1
	s_waitcnt lgkmcnt(0)
	v_pk_mov_b32 v[2:3], v[4:5], v[4:5] op_sel:[0,1]
.LBB3_40:
	s_or_b64 exec, exec, s[16:17]
	s_waitcnt lgkmcnt(2)
	v_and_b32_e32 v9, 0xff, v6
.LBB3_41:
	s_or_b64 exec, exec, s[8:9]
	s_load_dword s7, s[4:5], 0x30
	s_load_dwordx2 s[8:9], s[4:5], 0x34
	s_branch .LBB3_106
.LBB3_42:
                                        ; implicit-def: $vgpr2_vgpr3
                                        ; implicit-def: $vgpr9
	s_load_dword s7, s[4:5], 0x30
	s_load_dwordx2 s[8:9], s[4:5], 0x34
	s_cbranch_execz .LBB3_106
; %bb.43:
	s_mov_b32 s4, 0
	s_sub_i32 s18, s12, s20
	s_mov_b32 s5, s4
	v_cmp_gt_u32_e32 vcc, s18, v0
	v_mov_b32_e32 v1, 0
	s_waitcnt lgkmcnt(0)
	v_pk_mov_b32 v[2:3], s[4:5], s[4:5] op_sel:[0,1]
	v_mov_b32_e32 v6, 0
	s_and_saveexec_b64 s[16:17], vcc
	s_cbranch_execz .LBB3_45
; %bb.44:
	v_mad_u64_u32 v[4:5], s[20:21], v0, 12, s[10:11]
	global_load_ubyte v6, v[4:5], off
	global_load_dwordx2 v[2:3], v[4:5], off offset:4
.LBB3_45:
	s_or_b64 exec, exec, s[16:17]
	v_or_b32_e32 v4, 0x100, v0
	v_cmp_gt_u32_e32 vcc, s18, v4
	v_pk_mov_b32 v[4:5], s[4:5], s[4:5] op_sel:[0,1]
	s_and_saveexec_b64 s[4:5], vcc
	s_cbranch_execz .LBB3_47
; %bb.46:
	v_mad_u64_u32 v[8:9], s[10:11], v0, 12, s[10:11]
	global_load_ubyte v1, v[8:9], off offset:3072
	global_load_dwordx2 v[4:5], v[8:9], off offset:3076
.LBB3_47:
	s_or_b64 exec, exec, s[4:5]
	s_and_saveexec_b64 s[4:5], vcc
	s_cbranch_execz .LBB3_53
; %bb.48:
	s_waitcnt vmcnt(1)
	v_and_b32_e32 v7, 1, v6
	v_cmp_eq_u32_e32 vcc, 1, v7
	s_and_saveexec_b64 s[10:11], vcc
	s_cbranch_execz .LBB3_52
; %bb.49:
	v_and_b32_e32 v1, 1, v1
	v_cmp_eq_u32_e32 vcc, 1, v1
	s_and_saveexec_b64 s[16:17], vcc
	s_cbranch_execz .LBB3_51
; %bb.50:
	s_waitcnt vmcnt(0)
	v_cmp_lt_f32_e32 vcc, v3, v5
	v_cndmask_b32_e32 v3, v3, v5, vcc
	v_cmp_lt_f32_e32 vcc, v4, v2
	v_cndmask_b32_e32 v2, v2, v4, vcc
	v_mov_b32_e32 v6, 1
.LBB3_51:
	s_or_b64 exec, exec, s[16:17]
	s_waitcnt vmcnt(0)
	v_pk_mov_b32 v[4:5], v[2:3], v[2:3] op_sel:[0,1]
	v_mov_b32_e32 v1, v6
.LBB3_52:
	s_or_b64 exec, exec, s[10:11]
	v_mov_b32_e32 v6, v1
	s_waitcnt vmcnt(0)
	v_pk_mov_b32 v[2:3], v[4:5], v[4:5] op_sel:[0,1]
.LBB3_53:
	s_or_b64 exec, exec, s[4:5]
	s_waitcnt vmcnt(1)
	v_mbcnt_lo_u32_b32 v1, -1, 0
	v_mbcnt_hi_u32_b32 v1, -1, v1
	v_and_b32_e32 v8, 63, v1
	s_min_u32 s18, s18, 0x100
	s_waitcnt vmcnt(0)
	v_and_b32_e32 v4, 0xc0, v0
	v_cmp_ne_u32_e32 vcc, 63, v8
	v_sub_u32_e64 v7, s18, v4 clamp
	v_addc_co_u32_e32 v4, vcc, 0, v1, vcc
	v_and_b32_e32 v9, 0xff, v6
	v_lshlrev_b32_e32 v5, 2, v4
	ds_bpermute_b32 v12, v5, v9
	ds_bpermute_b32 v4, v5, v2
	;; [unrolled: 1-line block ×3, first 2 shown]
	v_add_u32_e32 v10, 1, v8
	v_cmp_lt_u32_e32 vcc, v10, v7
	v_mov_b32_e32 v10, v2
	v_mov_b32_e32 v11, v3
	s_and_saveexec_b64 s[4:5], vcc
	s_cbranch_execz .LBB3_59
; %bb.54:
	v_and_b32_e32 v9, 1, v6
	v_cmp_eq_u32_e32 vcc, 1, v9
	s_and_saveexec_b64 s[10:11], vcc
	s_cbranch_execz .LBB3_58
; %bb.55:
	s_waitcnt lgkmcnt(2)
	v_and_b32_e32 v9, 1, v12
	v_cmp_eq_u32_e32 vcc, 1, v9
	s_and_saveexec_b64 s[16:17], vcc
	s_cbranch_execz .LBB3_57
; %bb.56:
	s_waitcnt lgkmcnt(0)
	v_cmp_lt_f32_e32 vcc, v3, v5
	v_cndmask_b32_e32 v3, v3, v5, vcc
	v_cmp_gt_f32_e32 vcc, v2, v4
	v_cndmask_b32_e32 v2, v2, v4, vcc
	v_mov_b32_e32 v6, 1
.LBB3_57:
	s_or_b64 exec, exec, s[16:17]
	v_mov_b32_e32 v12, v6
	s_waitcnt lgkmcnt(0)
	v_pk_mov_b32 v[4:5], v[2:3], v[2:3] op_sel:[0,1]
.LBB3_58:
	s_or_b64 exec, exec, s[10:11]
	s_waitcnt lgkmcnt(2)
	v_and_b32_e32 v9, 0xff, v12
	s_waitcnt lgkmcnt(0)
	v_pk_mov_b32 v[2:3], v[4:5], v[4:5] op_sel:[0,1]
	v_mov_b32_e32 v6, v12
	v_mov_b32_e32 v10, v4
	;; [unrolled: 1-line block ×3, first 2 shown]
.LBB3_59:
	s_or_b64 exec, exec, s[4:5]
	v_cmp_gt_u32_e32 vcc, 62, v8
	s_waitcnt lgkmcnt(1)
	v_cndmask_b32_e64 v4, 0, 1, vcc
	v_lshlrev_b32_e32 v4, 1, v4
	s_waitcnt lgkmcnt(0)
	v_add_lshl_u32 v5, v4, v1, 2
	ds_bpermute_b32 v12, v5, v9
	ds_bpermute_b32 v4, v5, v10
	;; [unrolled: 1-line block ×3, first 2 shown]
	v_add_u32_e32 v13, 2, v8
	v_cmp_lt_u32_e32 vcc, v13, v7
	s_and_saveexec_b64 s[4:5], vcc
	s_cbranch_execz .LBB3_65
; %bb.60:
	v_and_b32_e32 v9, 1, v6
	v_cmp_eq_u32_e32 vcc, 1, v9
	s_and_saveexec_b64 s[10:11], vcc
	s_cbranch_execz .LBB3_64
; %bb.61:
	s_waitcnt lgkmcnt(2)
	v_and_b32_e32 v9, 1, v12
	v_cmp_eq_u32_e32 vcc, 1, v9
	s_and_saveexec_b64 s[16:17], vcc
	s_cbranch_execz .LBB3_63
; %bb.62:
	s_waitcnt lgkmcnt(0)
	v_cmp_lt_f32_e32 vcc, v3, v5
	v_cndmask_b32_e32 v3, v3, v5, vcc
	v_cmp_lt_f32_e32 vcc, v4, v2
	v_cndmask_b32_e32 v2, v2, v4, vcc
	v_mov_b32_e32 v6, 1
.LBB3_63:
	s_or_b64 exec, exec, s[16:17]
	v_mov_b32_e32 v12, v6
	s_waitcnt lgkmcnt(0)
	v_pk_mov_b32 v[4:5], v[2:3], v[2:3] op_sel:[0,1]
.LBB3_64:
	s_or_b64 exec, exec, s[10:11]
	s_waitcnt lgkmcnt(2)
	v_and_b32_e32 v9, 0xff, v12
	s_waitcnt lgkmcnt(0)
	v_pk_mov_b32 v[2:3], v[4:5], v[4:5] op_sel:[0,1]
	v_mov_b32_e32 v6, v12
	v_mov_b32_e32 v10, v4
	;; [unrolled: 1-line block ×3, first 2 shown]
.LBB3_65:
	s_or_b64 exec, exec, s[4:5]
	v_cmp_gt_u32_e32 vcc, 60, v8
	s_waitcnt lgkmcnt(1)
	v_cndmask_b32_e64 v4, 0, 1, vcc
	v_lshlrev_b32_e32 v4, 2, v4
	s_waitcnt lgkmcnt(0)
	v_add_lshl_u32 v5, v4, v1, 2
	ds_bpermute_b32 v12, v5, v9
	ds_bpermute_b32 v4, v5, v10
	;; [unrolled: 1-line block ×3, first 2 shown]
	v_add_u32_e32 v13, 4, v8
	v_cmp_lt_u32_e32 vcc, v13, v7
	s_and_saveexec_b64 s[4:5], vcc
	s_cbranch_execz .LBB3_71
; %bb.66:
	v_and_b32_e32 v9, 1, v6
	v_cmp_eq_u32_e32 vcc, 1, v9
	s_and_saveexec_b64 s[10:11], vcc
	s_cbranch_execz .LBB3_70
; %bb.67:
	s_waitcnt lgkmcnt(2)
	v_and_b32_e32 v9, 1, v12
	v_cmp_eq_u32_e32 vcc, 1, v9
	s_and_saveexec_b64 s[16:17], vcc
	s_cbranch_execz .LBB3_69
; %bb.68:
	s_waitcnt lgkmcnt(0)
	v_cmp_lt_f32_e32 vcc, v3, v5
	v_cndmask_b32_e32 v3, v3, v5, vcc
	v_cmp_lt_f32_e32 vcc, v4, v2
	v_cndmask_b32_e32 v2, v2, v4, vcc
	v_mov_b32_e32 v6, 1
.LBB3_69:
	s_or_b64 exec, exec, s[16:17]
	v_mov_b32_e32 v12, v6
	s_waitcnt lgkmcnt(0)
	v_pk_mov_b32 v[4:5], v[2:3], v[2:3] op_sel:[0,1]
.LBB3_70:
	s_or_b64 exec, exec, s[10:11]
	s_waitcnt lgkmcnt(2)
	v_and_b32_e32 v9, 0xff, v12
	s_waitcnt lgkmcnt(0)
	v_pk_mov_b32 v[2:3], v[4:5], v[4:5] op_sel:[0,1]
	v_mov_b32_e32 v6, v12
	v_mov_b32_e32 v10, v4
	;; [unrolled: 1-line block ×3, first 2 shown]
.LBB3_71:
	s_or_b64 exec, exec, s[4:5]
	v_cmp_gt_u32_e32 vcc, 56, v8
	s_waitcnt lgkmcnt(1)
	v_cndmask_b32_e64 v4, 0, 1, vcc
	v_lshlrev_b32_e32 v4, 3, v4
	s_waitcnt lgkmcnt(0)
	v_add_lshl_u32 v5, v4, v1, 2
	ds_bpermute_b32 v12, v5, v9
	ds_bpermute_b32 v4, v5, v10
	ds_bpermute_b32 v5, v5, v11
	v_add_u32_e32 v13, 8, v8
	v_cmp_lt_u32_e32 vcc, v13, v7
	s_and_saveexec_b64 s[4:5], vcc
	s_cbranch_execz .LBB3_77
; %bb.72:
	v_and_b32_e32 v9, 1, v6
	v_cmp_eq_u32_e32 vcc, 1, v9
	s_and_saveexec_b64 s[10:11], vcc
	s_cbranch_execz .LBB3_76
; %bb.73:
	s_waitcnt lgkmcnt(2)
	v_and_b32_e32 v9, 1, v12
	v_cmp_eq_u32_e32 vcc, 1, v9
	s_and_saveexec_b64 s[16:17], vcc
	s_cbranch_execz .LBB3_75
; %bb.74:
	s_waitcnt lgkmcnt(0)
	v_cmp_lt_f32_e32 vcc, v3, v5
	v_cndmask_b32_e32 v3, v3, v5, vcc
	v_cmp_gt_f32_e32 vcc, v2, v4
	v_cndmask_b32_e32 v2, v2, v4, vcc
	v_mov_b32_e32 v6, 1
.LBB3_75:
	s_or_b64 exec, exec, s[16:17]
	v_mov_b32_e32 v12, v6
	s_waitcnt lgkmcnt(0)
	v_pk_mov_b32 v[4:5], v[2:3], v[2:3] op_sel:[0,1]
.LBB3_76:
	s_or_b64 exec, exec, s[10:11]
	s_waitcnt lgkmcnt(2)
	v_and_b32_e32 v9, 0xff, v12
	s_waitcnt lgkmcnt(0)
	v_pk_mov_b32 v[2:3], v[4:5], v[4:5] op_sel:[0,1]
	v_mov_b32_e32 v6, v12
	v_mov_b32_e32 v10, v4
	;; [unrolled: 1-line block ×3, first 2 shown]
.LBB3_77:
	s_or_b64 exec, exec, s[4:5]
	v_cmp_gt_u32_e32 vcc, 48, v8
	s_waitcnt lgkmcnt(1)
	v_cndmask_b32_e64 v4, 0, 1, vcc
	v_lshlrev_b32_e32 v4, 4, v4
	s_waitcnt lgkmcnt(0)
	v_add_lshl_u32 v5, v4, v1, 2
	ds_bpermute_b32 v12, v5, v9
	ds_bpermute_b32 v4, v5, v10
	;; [unrolled: 1-line block ×3, first 2 shown]
	v_add_u32_e32 v13, 16, v8
	v_cmp_lt_u32_e32 vcc, v13, v7
	s_and_saveexec_b64 s[4:5], vcc
	s_cbranch_execz .LBB3_83
; %bb.78:
	v_and_b32_e32 v9, 1, v6
	v_cmp_eq_u32_e32 vcc, 1, v9
	s_and_saveexec_b64 s[10:11], vcc
	s_cbranch_execz .LBB3_82
; %bb.79:
	s_waitcnt lgkmcnt(2)
	v_and_b32_e32 v9, 1, v12
	v_cmp_eq_u32_e32 vcc, 1, v9
	s_and_saveexec_b64 s[16:17], vcc
	s_cbranch_execz .LBB3_81
; %bb.80:
	s_waitcnt lgkmcnt(0)
	v_cmp_gt_f32_e32 vcc, v5, v3
	v_cndmask_b32_e32 v3, v3, v5, vcc
	v_cmp_gt_f32_e32 vcc, v2, v4
	v_cndmask_b32_e32 v2, v2, v4, vcc
	v_mov_b32_e32 v6, 1
.LBB3_81:
	s_or_b64 exec, exec, s[16:17]
	v_mov_b32_e32 v12, v6
	s_waitcnt lgkmcnt(0)
	v_pk_mov_b32 v[4:5], v[2:3], v[2:3] op_sel:[0,1]
.LBB3_82:
	s_or_b64 exec, exec, s[10:11]
	s_waitcnt lgkmcnt(2)
	v_and_b32_e32 v9, 0xff, v12
	s_waitcnt lgkmcnt(0)
	v_pk_mov_b32 v[2:3], v[4:5], v[4:5] op_sel:[0,1]
	v_mov_b32_e32 v6, v12
	v_mov_b32_e32 v10, v4
	;; [unrolled: 1-line block ×3, first 2 shown]
.LBB3_83:
	s_or_b64 exec, exec, s[4:5]
	v_cmp_gt_u32_e32 vcc, 32, v8
	s_waitcnt lgkmcnt(1)
	v_cndmask_b32_e64 v4, 0, 1, vcc
	v_lshlrev_b32_e32 v4, 5, v4
	s_waitcnt lgkmcnt(0)
	v_add_lshl_u32 v5, v4, v1, 2
	ds_bpermute_b32 v12, v5, v9
	ds_bpermute_b32 v4, v5, v10
	;; [unrolled: 1-line block ×3, first 2 shown]
	v_add_u32_e32 v8, 32, v8
	v_cmp_lt_u32_e32 vcc, v8, v7
	s_and_saveexec_b64 s[4:5], vcc
	s_cbranch_execz .LBB3_89
; %bb.84:
	v_and_b32_e32 v7, 1, v6
	v_cmp_eq_u32_e32 vcc, 1, v7
	s_and_saveexec_b64 s[10:11], vcc
	s_cbranch_execz .LBB3_88
; %bb.85:
	s_waitcnt lgkmcnt(2)
	v_and_b32_e32 v7, 1, v12
	v_cmp_eq_u32_e32 vcc, 1, v7
	s_and_saveexec_b64 s[16:17], vcc
	s_cbranch_execz .LBB3_87
; %bb.86:
	s_waitcnt lgkmcnt(0)
	v_cmp_gt_f32_e32 vcc, v5, v3
	v_cndmask_b32_e32 v3, v3, v5, vcc
	v_cmp_gt_f32_e32 vcc, v2, v4
	v_cndmask_b32_e32 v2, v2, v4, vcc
	v_mov_b32_e32 v6, 1
.LBB3_87:
	s_or_b64 exec, exec, s[16:17]
	v_mov_b32_e32 v12, v6
	s_waitcnt lgkmcnt(0)
	v_pk_mov_b32 v[4:5], v[2:3], v[2:3] op_sel:[0,1]
.LBB3_88:
	s_or_b64 exec, exec, s[10:11]
	s_waitcnt lgkmcnt(2)
	v_and_b32_e32 v9, 0xff, v12
	s_waitcnt lgkmcnt(0)
	v_pk_mov_b32 v[2:3], v[4:5], v[4:5] op_sel:[0,1]
	v_mov_b32_e32 v6, v12
.LBB3_89:
	s_or_b64 exec, exec, s[4:5]
	v_cmp_eq_u32_e32 vcc, 0, v1
	s_and_saveexec_b64 s[4:5], vcc
	s_cbranch_execz .LBB3_91
; %bb.90:
	s_waitcnt lgkmcnt(1)
	v_lshrrev_b32_e32 v4, 6, v0
	v_mul_u32_u24_e32 v4, 12, v4
	ds_write_b8 v4, v6
	ds_write2_b32 v4, v2, v3 offset0:1 offset1:2
.LBB3_91:
	s_or_b64 exec, exec, s[4:5]
	v_cmp_gt_u32_e32 vcc, 4, v0
	s_waitcnt lgkmcnt(0)
	s_barrier
	s_and_saveexec_b64 s[4:5], vcc
	s_cbranch_execz .LBB3_105
; %bb.92:
	v_mul_u32_u24_e32 v2, 12, v1
	ds_read_u8 v6, v2
	ds_read2_b32 v[2:3], v2 offset0:1 offset1:2
	v_and_b32_e32 v7, 3, v1
	v_cmp_ne_u32_e32 vcc, 3, v7
	v_addc_co_u32_e32 v4, vcc, 0, v1, vcc
	s_waitcnt lgkmcnt(1)
	v_and_b32_e32 v9, 0xff, v6
	v_lshlrev_b32_e32 v5, 2, v4
	ds_bpermute_b32 v8, v5, v9
	s_waitcnt lgkmcnt(1)
	ds_bpermute_b32 v4, v5, v2
	ds_bpermute_b32 v5, v5, v3
	s_add_i32 s18, s18, 63
	s_lshr_b32 s20, s18, 6
	v_add_u32_e32 v10, 1, v7
	v_cmp_gt_u32_e32 vcc, s20, v10
	v_mov_b32_e32 v10, v2
	v_mov_b32_e32 v11, v3
	s_and_saveexec_b64 s[10:11], vcc
	s_cbranch_execz .LBB3_98
; %bb.93:
	v_and_b32_e32 v9, 1, v6
	v_cmp_eq_u32_e32 vcc, 1, v9
	s_and_saveexec_b64 s[16:17], vcc
	s_cbranch_execz .LBB3_97
; %bb.94:
	s_waitcnt lgkmcnt(2)
	v_and_b32_e32 v8, 1, v8
	v_cmp_eq_u32_e32 vcc, 1, v8
	s_and_saveexec_b64 s[18:19], vcc
	s_cbranch_execz .LBB3_96
; %bb.95:
	s_waitcnt lgkmcnt(0)
	v_cmp_gt_f32_e32 vcc, v5, v3
	v_cndmask_b32_e32 v3, v3, v5, vcc
	v_cmp_gt_f32_e32 vcc, v2, v4
	v_cndmask_b32_e32 v2, v2, v4, vcc
	v_mov_b32_e32 v6, 1
.LBB3_96:
	s_or_b64 exec, exec, s[18:19]
	v_mov_b32_e32 v8, v6
	s_waitcnt lgkmcnt(0)
	v_pk_mov_b32 v[4:5], v[2:3], v[2:3] op_sel:[0,1]
.LBB3_97:
	s_or_b64 exec, exec, s[16:17]
	s_waitcnt lgkmcnt(2)
	v_and_b32_e32 v9, 0xff, v8
	s_waitcnt lgkmcnt(0)
	v_pk_mov_b32 v[2:3], v[4:5], v[4:5] op_sel:[0,1]
	v_mov_b32_e32 v6, v8
	v_mov_b32_e32 v10, v4
	;; [unrolled: 1-line block ×3, first 2 shown]
.LBB3_98:
	s_or_b64 exec, exec, s[10:11]
	v_cmp_gt_u32_e32 vcc, 2, v7
	s_waitcnt lgkmcnt(1)
	v_cndmask_b32_e64 v4, 0, 1, vcc
	v_lshlrev_b32_e32 v4, 1, v4
	s_waitcnt lgkmcnt(0)
	v_add_lshl_u32 v5, v4, v1, 2
	ds_bpermute_b32 v1, v5, v9
	ds_bpermute_b32 v4, v5, v10
	;; [unrolled: 1-line block ×3, first 2 shown]
	v_add_u32_e32 v7, 2, v7
	v_cmp_gt_u32_e32 vcc, s20, v7
	s_and_saveexec_b64 s[10:11], vcc
	s_cbranch_execz .LBB3_104
; %bb.99:
	v_and_b32_e32 v7, 1, v6
	v_cmp_eq_u32_e32 vcc, 1, v7
	s_and_saveexec_b64 s[16:17], vcc
	s_cbranch_execz .LBB3_103
; %bb.100:
	s_waitcnt lgkmcnt(2)
	v_and_b32_e32 v1, 1, v1
	v_cmp_eq_u32_e32 vcc, 1, v1
	s_and_saveexec_b64 s[18:19], vcc
	s_cbranch_execz .LBB3_102
; %bb.101:
	s_waitcnt lgkmcnt(0)
	v_cmp_gt_f32_e32 vcc, v5, v3
	v_cndmask_b32_e32 v3, v3, v5, vcc
	v_cmp_gt_f32_e32 vcc, v2, v4
	v_cndmask_b32_e32 v2, v2, v4, vcc
	v_mov_b32_e32 v6, 1
.LBB3_102:
	s_or_b64 exec, exec, s[18:19]
	v_mov_b32_e32 v1, v6
	s_waitcnt lgkmcnt(0)
	v_pk_mov_b32 v[4:5], v[2:3], v[2:3] op_sel:[0,1]
.LBB3_103:
	s_or_b64 exec, exec, s[16:17]
	s_waitcnt lgkmcnt(2)
	v_and_b32_e32 v9, 0xff, v1
	s_waitcnt lgkmcnt(0)
	v_pk_mov_b32 v[2:3], v[4:5], v[4:5] op_sel:[0,1]
.LBB3_104:
	s_or_b64 exec, exec, s[10:11]
.LBB3_105:
	s_or_b64 exec, exec, s[4:5]
.LBB3_106:
	v_cmp_eq_u32_e32 vcc, 0, v0
	s_and_saveexec_b64 s[4:5], vcc
	s_cbranch_execnz .LBB3_108
; %bb.107:
	s_endpgm
.LBB3_108:
	s_mul_i32 s1, s2, s1
	s_mul_hi_u32 s4, s2, s0
	s_add_i32 s1, s4, s1
	s_mul_i32 s3, s3, s0
	s_add_i32 s1, s1, s3
	s_mul_i32 s0, s2, s0
	s_mul_i32 s1, s1, 12
	s_mul_hi_u32 s2, s0, 12
	s_add_i32 s2, s2, s1
	s_mul_i32 s0, s0, 12
	s_add_u32 s0, s14, s0
	s_addc_u32 s1, s15, s2
	s_cmp_eq_u64 s[12:13], 0
	s_mul_i32 s3, s6, 12
	s_waitcnt lgkmcnt(0)
	v_mov_b32_e32 v0, s7
	s_cselect_b64 vcc, -1, 0
	s_mul_hi_u32 s2, s6, 12
	s_add_u32 s0, s0, s3
	v_cndmask_b32_e32 v0, v9, v0, vcc
	s_addc_u32 s1, s1, s2
	v_mov_b32_e32 v4, 0
	global_store_byte v4, v0, s[0:1]
	v_mov_b32_e32 v0, s9
	v_cndmask_b32_e32 v1, v3, v0, vcc
	v_mov_b32_e32 v0, s8
	v_cndmask_b32_e32 v0, v2, v0, vcc
	global_store_dwordx2 v4, v[0:1], s[0:1] offset:4
	s_endpgm
	.section	.rodata,"a",@progbits
	.p2align	6, 0x0
	.amdhsa_kernel _ZN7rocprim17ROCPRIM_400000_NS6detail17trampoline_kernelINS0_14default_configENS1_22reduce_config_selectorIN6thrust23THRUST_200600_302600_NS5tupleIbffNS6_9null_typeES8_S8_S8_S8_S8_S8_EEEEZNS1_11reduce_implILb1ES3_PS9_SC_S9_12reduce_tupleIifEEE10hipError_tPvRmT1_T2_T3_mT4_P12ihipStream_tbEUlT_E0_NS1_11comp_targetILNS1_3genE4ELNS1_11target_archE910ELNS1_3gpuE8ELNS1_3repE0EEENS1_30default_config_static_selectorELNS0_4arch9wavefront6targetE1EEEvSI_
		.amdhsa_group_segment_fixed_size 96
		.amdhsa_private_segment_fixed_size 0
		.amdhsa_kernarg_size 64
		.amdhsa_user_sgpr_count 6
		.amdhsa_user_sgpr_private_segment_buffer 1
		.amdhsa_user_sgpr_dispatch_ptr 0
		.amdhsa_user_sgpr_queue_ptr 0
		.amdhsa_user_sgpr_kernarg_segment_ptr 1
		.amdhsa_user_sgpr_dispatch_id 0
		.amdhsa_user_sgpr_flat_scratch_init 0
		.amdhsa_user_sgpr_kernarg_preload_length 0
		.amdhsa_user_sgpr_kernarg_preload_offset 0
		.amdhsa_user_sgpr_private_segment_size 0
		.amdhsa_uses_dynamic_stack 0
		.amdhsa_system_sgpr_private_segment_wavefront_offset 0
		.amdhsa_system_sgpr_workgroup_id_x 1
		.amdhsa_system_sgpr_workgroup_id_y 0
		.amdhsa_system_sgpr_workgroup_id_z 0
		.amdhsa_system_sgpr_workgroup_info 0
		.amdhsa_system_vgpr_workitem_id 0
		.amdhsa_next_free_vgpr 14
		.amdhsa_next_free_sgpr 22
		.amdhsa_accum_offset 16
		.amdhsa_reserve_vcc 1
		.amdhsa_reserve_flat_scratch 0
		.amdhsa_float_round_mode_32 0
		.amdhsa_float_round_mode_16_64 0
		.amdhsa_float_denorm_mode_32 3
		.amdhsa_float_denorm_mode_16_64 3
		.amdhsa_dx10_clamp 1
		.amdhsa_ieee_mode 1
		.amdhsa_fp16_overflow 0
		.amdhsa_tg_split 0
		.amdhsa_exception_fp_ieee_invalid_op 0
		.amdhsa_exception_fp_denorm_src 0
		.amdhsa_exception_fp_ieee_div_zero 0
		.amdhsa_exception_fp_ieee_overflow 0
		.amdhsa_exception_fp_ieee_underflow 0
		.amdhsa_exception_fp_ieee_inexact 0
		.amdhsa_exception_int_div_zero 0
	.end_amdhsa_kernel
	.section	.text._ZN7rocprim17ROCPRIM_400000_NS6detail17trampoline_kernelINS0_14default_configENS1_22reduce_config_selectorIN6thrust23THRUST_200600_302600_NS5tupleIbffNS6_9null_typeES8_S8_S8_S8_S8_S8_EEEEZNS1_11reduce_implILb1ES3_PS9_SC_S9_12reduce_tupleIifEEE10hipError_tPvRmT1_T2_T3_mT4_P12ihipStream_tbEUlT_E0_NS1_11comp_targetILNS1_3genE4ELNS1_11target_archE910ELNS1_3gpuE8ELNS1_3repE0EEENS1_30default_config_static_selectorELNS0_4arch9wavefront6targetE1EEEvSI_,"axG",@progbits,_ZN7rocprim17ROCPRIM_400000_NS6detail17trampoline_kernelINS0_14default_configENS1_22reduce_config_selectorIN6thrust23THRUST_200600_302600_NS5tupleIbffNS6_9null_typeES8_S8_S8_S8_S8_S8_EEEEZNS1_11reduce_implILb1ES3_PS9_SC_S9_12reduce_tupleIifEEE10hipError_tPvRmT1_T2_T3_mT4_P12ihipStream_tbEUlT_E0_NS1_11comp_targetILNS1_3genE4ELNS1_11target_archE910ELNS1_3gpuE8ELNS1_3repE0EEENS1_30default_config_static_selectorELNS0_4arch9wavefront6targetE1EEEvSI_,comdat
.Lfunc_end3:
	.size	_ZN7rocprim17ROCPRIM_400000_NS6detail17trampoline_kernelINS0_14default_configENS1_22reduce_config_selectorIN6thrust23THRUST_200600_302600_NS5tupleIbffNS6_9null_typeES8_S8_S8_S8_S8_S8_EEEEZNS1_11reduce_implILb1ES3_PS9_SC_S9_12reduce_tupleIifEEE10hipError_tPvRmT1_T2_T3_mT4_P12ihipStream_tbEUlT_E0_NS1_11comp_targetILNS1_3genE4ELNS1_11target_archE910ELNS1_3gpuE8ELNS1_3repE0EEENS1_30default_config_static_selectorELNS0_4arch9wavefront6targetE1EEEvSI_, .Lfunc_end3-_ZN7rocprim17ROCPRIM_400000_NS6detail17trampoline_kernelINS0_14default_configENS1_22reduce_config_selectorIN6thrust23THRUST_200600_302600_NS5tupleIbffNS6_9null_typeES8_S8_S8_S8_S8_S8_EEEEZNS1_11reduce_implILb1ES3_PS9_SC_S9_12reduce_tupleIifEEE10hipError_tPvRmT1_T2_T3_mT4_P12ihipStream_tbEUlT_E0_NS1_11comp_targetILNS1_3genE4ELNS1_11target_archE910ELNS1_3gpuE8ELNS1_3repE0EEENS1_30default_config_static_selectorELNS0_4arch9wavefront6targetE1EEEvSI_
                                        ; -- End function
	.section	.AMDGPU.csdata,"",@progbits
; Kernel info:
; codeLenInByte = 3416
; NumSgprs: 26
; NumVgprs: 14
; NumAgprs: 0
; TotalNumVgprs: 14
; ScratchSize: 0
; MemoryBound: 0
; FloatMode: 240
; IeeeMode: 1
; LDSByteSize: 96 bytes/workgroup (compile time only)
; SGPRBlocks: 3
; VGPRBlocks: 1
; NumSGPRsForWavesPerEU: 26
; NumVGPRsForWavesPerEU: 14
; AccumOffset: 16
; Occupancy: 8
; WaveLimiterHint : 1
; COMPUTE_PGM_RSRC2:SCRATCH_EN: 0
; COMPUTE_PGM_RSRC2:USER_SGPR: 6
; COMPUTE_PGM_RSRC2:TRAP_HANDLER: 0
; COMPUTE_PGM_RSRC2:TGID_X_EN: 1
; COMPUTE_PGM_RSRC2:TGID_Y_EN: 0
; COMPUTE_PGM_RSRC2:TGID_Z_EN: 0
; COMPUTE_PGM_RSRC2:TIDIG_COMP_CNT: 0
; COMPUTE_PGM_RSRC3_GFX90A:ACCUM_OFFSET: 3
; COMPUTE_PGM_RSRC3_GFX90A:TG_SPLIT: 0
	.section	.text._ZN7rocprim17ROCPRIM_400000_NS6detail17trampoline_kernelINS0_14default_configENS1_22reduce_config_selectorIN6thrust23THRUST_200600_302600_NS5tupleIbffNS6_9null_typeES8_S8_S8_S8_S8_S8_EEEEZNS1_11reduce_implILb1ES3_PS9_SC_S9_12reduce_tupleIifEEE10hipError_tPvRmT1_T2_T3_mT4_P12ihipStream_tbEUlT_E0_NS1_11comp_targetILNS1_3genE3ELNS1_11target_archE908ELNS1_3gpuE7ELNS1_3repE0EEENS1_30default_config_static_selectorELNS0_4arch9wavefront6targetE1EEEvSI_,"axG",@progbits,_ZN7rocprim17ROCPRIM_400000_NS6detail17trampoline_kernelINS0_14default_configENS1_22reduce_config_selectorIN6thrust23THRUST_200600_302600_NS5tupleIbffNS6_9null_typeES8_S8_S8_S8_S8_S8_EEEEZNS1_11reduce_implILb1ES3_PS9_SC_S9_12reduce_tupleIifEEE10hipError_tPvRmT1_T2_T3_mT4_P12ihipStream_tbEUlT_E0_NS1_11comp_targetILNS1_3genE3ELNS1_11target_archE908ELNS1_3gpuE7ELNS1_3repE0EEENS1_30default_config_static_selectorELNS0_4arch9wavefront6targetE1EEEvSI_,comdat
	.protected	_ZN7rocprim17ROCPRIM_400000_NS6detail17trampoline_kernelINS0_14default_configENS1_22reduce_config_selectorIN6thrust23THRUST_200600_302600_NS5tupleIbffNS6_9null_typeES8_S8_S8_S8_S8_S8_EEEEZNS1_11reduce_implILb1ES3_PS9_SC_S9_12reduce_tupleIifEEE10hipError_tPvRmT1_T2_T3_mT4_P12ihipStream_tbEUlT_E0_NS1_11comp_targetILNS1_3genE3ELNS1_11target_archE908ELNS1_3gpuE7ELNS1_3repE0EEENS1_30default_config_static_selectorELNS0_4arch9wavefront6targetE1EEEvSI_ ; -- Begin function _ZN7rocprim17ROCPRIM_400000_NS6detail17trampoline_kernelINS0_14default_configENS1_22reduce_config_selectorIN6thrust23THRUST_200600_302600_NS5tupleIbffNS6_9null_typeES8_S8_S8_S8_S8_S8_EEEEZNS1_11reduce_implILb1ES3_PS9_SC_S9_12reduce_tupleIifEEE10hipError_tPvRmT1_T2_T3_mT4_P12ihipStream_tbEUlT_E0_NS1_11comp_targetILNS1_3genE3ELNS1_11target_archE908ELNS1_3gpuE7ELNS1_3repE0EEENS1_30default_config_static_selectorELNS0_4arch9wavefront6targetE1EEEvSI_
	.globl	_ZN7rocprim17ROCPRIM_400000_NS6detail17trampoline_kernelINS0_14default_configENS1_22reduce_config_selectorIN6thrust23THRUST_200600_302600_NS5tupleIbffNS6_9null_typeES8_S8_S8_S8_S8_S8_EEEEZNS1_11reduce_implILb1ES3_PS9_SC_S9_12reduce_tupleIifEEE10hipError_tPvRmT1_T2_T3_mT4_P12ihipStream_tbEUlT_E0_NS1_11comp_targetILNS1_3genE3ELNS1_11target_archE908ELNS1_3gpuE7ELNS1_3repE0EEENS1_30default_config_static_selectorELNS0_4arch9wavefront6targetE1EEEvSI_
	.p2align	8
	.type	_ZN7rocprim17ROCPRIM_400000_NS6detail17trampoline_kernelINS0_14default_configENS1_22reduce_config_selectorIN6thrust23THRUST_200600_302600_NS5tupleIbffNS6_9null_typeES8_S8_S8_S8_S8_S8_EEEEZNS1_11reduce_implILb1ES3_PS9_SC_S9_12reduce_tupleIifEEE10hipError_tPvRmT1_T2_T3_mT4_P12ihipStream_tbEUlT_E0_NS1_11comp_targetILNS1_3genE3ELNS1_11target_archE908ELNS1_3gpuE7ELNS1_3repE0EEENS1_30default_config_static_selectorELNS0_4arch9wavefront6targetE1EEEvSI_,@function
_ZN7rocprim17ROCPRIM_400000_NS6detail17trampoline_kernelINS0_14default_configENS1_22reduce_config_selectorIN6thrust23THRUST_200600_302600_NS5tupleIbffNS6_9null_typeES8_S8_S8_S8_S8_S8_EEEEZNS1_11reduce_implILb1ES3_PS9_SC_S9_12reduce_tupleIifEEE10hipError_tPvRmT1_T2_T3_mT4_P12ihipStream_tbEUlT_E0_NS1_11comp_targetILNS1_3genE3ELNS1_11target_archE908ELNS1_3gpuE7ELNS1_3repE0EEENS1_30default_config_static_selectorELNS0_4arch9wavefront6targetE1EEEvSI_: ; @_ZN7rocprim17ROCPRIM_400000_NS6detail17trampoline_kernelINS0_14default_configENS1_22reduce_config_selectorIN6thrust23THRUST_200600_302600_NS5tupleIbffNS6_9null_typeES8_S8_S8_S8_S8_S8_EEEEZNS1_11reduce_implILb1ES3_PS9_SC_S9_12reduce_tupleIifEEE10hipError_tPvRmT1_T2_T3_mT4_P12ihipStream_tbEUlT_E0_NS1_11comp_targetILNS1_3genE3ELNS1_11target_archE908ELNS1_3gpuE7ELNS1_3repE0EEENS1_30default_config_static_selectorELNS0_4arch9wavefront6targetE1EEEvSI_
; %bb.0:
	.section	.rodata,"a",@progbits
	.p2align	6, 0x0
	.amdhsa_kernel _ZN7rocprim17ROCPRIM_400000_NS6detail17trampoline_kernelINS0_14default_configENS1_22reduce_config_selectorIN6thrust23THRUST_200600_302600_NS5tupleIbffNS6_9null_typeES8_S8_S8_S8_S8_S8_EEEEZNS1_11reduce_implILb1ES3_PS9_SC_S9_12reduce_tupleIifEEE10hipError_tPvRmT1_T2_T3_mT4_P12ihipStream_tbEUlT_E0_NS1_11comp_targetILNS1_3genE3ELNS1_11target_archE908ELNS1_3gpuE7ELNS1_3repE0EEENS1_30default_config_static_selectorELNS0_4arch9wavefront6targetE1EEEvSI_
		.amdhsa_group_segment_fixed_size 0
		.amdhsa_private_segment_fixed_size 0
		.amdhsa_kernarg_size 64
		.amdhsa_user_sgpr_count 6
		.amdhsa_user_sgpr_private_segment_buffer 1
		.amdhsa_user_sgpr_dispatch_ptr 0
		.amdhsa_user_sgpr_queue_ptr 0
		.amdhsa_user_sgpr_kernarg_segment_ptr 1
		.amdhsa_user_sgpr_dispatch_id 0
		.amdhsa_user_sgpr_flat_scratch_init 0
		.amdhsa_user_sgpr_kernarg_preload_length 0
		.amdhsa_user_sgpr_kernarg_preload_offset 0
		.amdhsa_user_sgpr_private_segment_size 0
		.amdhsa_uses_dynamic_stack 0
		.amdhsa_system_sgpr_private_segment_wavefront_offset 0
		.amdhsa_system_sgpr_workgroup_id_x 1
		.amdhsa_system_sgpr_workgroup_id_y 0
		.amdhsa_system_sgpr_workgroup_id_z 0
		.amdhsa_system_sgpr_workgroup_info 0
		.amdhsa_system_vgpr_workitem_id 0
		.amdhsa_next_free_vgpr 1
		.amdhsa_next_free_sgpr 0
		.amdhsa_accum_offset 4
		.amdhsa_reserve_vcc 0
		.amdhsa_reserve_flat_scratch 0
		.amdhsa_float_round_mode_32 0
		.amdhsa_float_round_mode_16_64 0
		.amdhsa_float_denorm_mode_32 3
		.amdhsa_float_denorm_mode_16_64 3
		.amdhsa_dx10_clamp 1
		.amdhsa_ieee_mode 1
		.amdhsa_fp16_overflow 0
		.amdhsa_tg_split 0
		.amdhsa_exception_fp_ieee_invalid_op 0
		.amdhsa_exception_fp_denorm_src 0
		.amdhsa_exception_fp_ieee_div_zero 0
		.amdhsa_exception_fp_ieee_overflow 0
		.amdhsa_exception_fp_ieee_underflow 0
		.amdhsa_exception_fp_ieee_inexact 0
		.amdhsa_exception_int_div_zero 0
	.end_amdhsa_kernel
	.section	.text._ZN7rocprim17ROCPRIM_400000_NS6detail17trampoline_kernelINS0_14default_configENS1_22reduce_config_selectorIN6thrust23THRUST_200600_302600_NS5tupleIbffNS6_9null_typeES8_S8_S8_S8_S8_S8_EEEEZNS1_11reduce_implILb1ES3_PS9_SC_S9_12reduce_tupleIifEEE10hipError_tPvRmT1_T2_T3_mT4_P12ihipStream_tbEUlT_E0_NS1_11comp_targetILNS1_3genE3ELNS1_11target_archE908ELNS1_3gpuE7ELNS1_3repE0EEENS1_30default_config_static_selectorELNS0_4arch9wavefront6targetE1EEEvSI_,"axG",@progbits,_ZN7rocprim17ROCPRIM_400000_NS6detail17trampoline_kernelINS0_14default_configENS1_22reduce_config_selectorIN6thrust23THRUST_200600_302600_NS5tupleIbffNS6_9null_typeES8_S8_S8_S8_S8_S8_EEEEZNS1_11reduce_implILb1ES3_PS9_SC_S9_12reduce_tupleIifEEE10hipError_tPvRmT1_T2_T3_mT4_P12ihipStream_tbEUlT_E0_NS1_11comp_targetILNS1_3genE3ELNS1_11target_archE908ELNS1_3gpuE7ELNS1_3repE0EEENS1_30default_config_static_selectorELNS0_4arch9wavefront6targetE1EEEvSI_,comdat
.Lfunc_end4:
	.size	_ZN7rocprim17ROCPRIM_400000_NS6detail17trampoline_kernelINS0_14default_configENS1_22reduce_config_selectorIN6thrust23THRUST_200600_302600_NS5tupleIbffNS6_9null_typeES8_S8_S8_S8_S8_S8_EEEEZNS1_11reduce_implILb1ES3_PS9_SC_S9_12reduce_tupleIifEEE10hipError_tPvRmT1_T2_T3_mT4_P12ihipStream_tbEUlT_E0_NS1_11comp_targetILNS1_3genE3ELNS1_11target_archE908ELNS1_3gpuE7ELNS1_3repE0EEENS1_30default_config_static_selectorELNS0_4arch9wavefront6targetE1EEEvSI_, .Lfunc_end4-_ZN7rocprim17ROCPRIM_400000_NS6detail17trampoline_kernelINS0_14default_configENS1_22reduce_config_selectorIN6thrust23THRUST_200600_302600_NS5tupleIbffNS6_9null_typeES8_S8_S8_S8_S8_S8_EEEEZNS1_11reduce_implILb1ES3_PS9_SC_S9_12reduce_tupleIifEEE10hipError_tPvRmT1_T2_T3_mT4_P12ihipStream_tbEUlT_E0_NS1_11comp_targetILNS1_3genE3ELNS1_11target_archE908ELNS1_3gpuE7ELNS1_3repE0EEENS1_30default_config_static_selectorELNS0_4arch9wavefront6targetE1EEEvSI_
                                        ; -- End function
	.section	.AMDGPU.csdata,"",@progbits
; Kernel info:
; codeLenInByte = 0
; NumSgprs: 4
; NumVgprs: 0
; NumAgprs: 0
; TotalNumVgprs: 0
; ScratchSize: 0
; MemoryBound: 0
; FloatMode: 240
; IeeeMode: 1
; LDSByteSize: 0 bytes/workgroup (compile time only)
; SGPRBlocks: 0
; VGPRBlocks: 0
; NumSGPRsForWavesPerEU: 4
; NumVGPRsForWavesPerEU: 1
; AccumOffset: 4
; Occupancy: 8
; WaveLimiterHint : 0
; COMPUTE_PGM_RSRC2:SCRATCH_EN: 0
; COMPUTE_PGM_RSRC2:USER_SGPR: 6
; COMPUTE_PGM_RSRC2:TRAP_HANDLER: 0
; COMPUTE_PGM_RSRC2:TGID_X_EN: 1
; COMPUTE_PGM_RSRC2:TGID_Y_EN: 0
; COMPUTE_PGM_RSRC2:TGID_Z_EN: 0
; COMPUTE_PGM_RSRC2:TIDIG_COMP_CNT: 0
; COMPUTE_PGM_RSRC3_GFX90A:ACCUM_OFFSET: 0
; COMPUTE_PGM_RSRC3_GFX90A:TG_SPLIT: 0
	.section	.text._ZN7rocprim17ROCPRIM_400000_NS6detail17trampoline_kernelINS0_14default_configENS1_22reduce_config_selectorIN6thrust23THRUST_200600_302600_NS5tupleIbffNS6_9null_typeES8_S8_S8_S8_S8_S8_EEEEZNS1_11reduce_implILb1ES3_PS9_SC_S9_12reduce_tupleIifEEE10hipError_tPvRmT1_T2_T3_mT4_P12ihipStream_tbEUlT_E0_NS1_11comp_targetILNS1_3genE2ELNS1_11target_archE906ELNS1_3gpuE6ELNS1_3repE0EEENS1_30default_config_static_selectorELNS0_4arch9wavefront6targetE1EEEvSI_,"axG",@progbits,_ZN7rocprim17ROCPRIM_400000_NS6detail17trampoline_kernelINS0_14default_configENS1_22reduce_config_selectorIN6thrust23THRUST_200600_302600_NS5tupleIbffNS6_9null_typeES8_S8_S8_S8_S8_S8_EEEEZNS1_11reduce_implILb1ES3_PS9_SC_S9_12reduce_tupleIifEEE10hipError_tPvRmT1_T2_T3_mT4_P12ihipStream_tbEUlT_E0_NS1_11comp_targetILNS1_3genE2ELNS1_11target_archE906ELNS1_3gpuE6ELNS1_3repE0EEENS1_30default_config_static_selectorELNS0_4arch9wavefront6targetE1EEEvSI_,comdat
	.protected	_ZN7rocprim17ROCPRIM_400000_NS6detail17trampoline_kernelINS0_14default_configENS1_22reduce_config_selectorIN6thrust23THRUST_200600_302600_NS5tupleIbffNS6_9null_typeES8_S8_S8_S8_S8_S8_EEEEZNS1_11reduce_implILb1ES3_PS9_SC_S9_12reduce_tupleIifEEE10hipError_tPvRmT1_T2_T3_mT4_P12ihipStream_tbEUlT_E0_NS1_11comp_targetILNS1_3genE2ELNS1_11target_archE906ELNS1_3gpuE6ELNS1_3repE0EEENS1_30default_config_static_selectorELNS0_4arch9wavefront6targetE1EEEvSI_ ; -- Begin function _ZN7rocprim17ROCPRIM_400000_NS6detail17trampoline_kernelINS0_14default_configENS1_22reduce_config_selectorIN6thrust23THRUST_200600_302600_NS5tupleIbffNS6_9null_typeES8_S8_S8_S8_S8_S8_EEEEZNS1_11reduce_implILb1ES3_PS9_SC_S9_12reduce_tupleIifEEE10hipError_tPvRmT1_T2_T3_mT4_P12ihipStream_tbEUlT_E0_NS1_11comp_targetILNS1_3genE2ELNS1_11target_archE906ELNS1_3gpuE6ELNS1_3repE0EEENS1_30default_config_static_selectorELNS0_4arch9wavefront6targetE1EEEvSI_
	.globl	_ZN7rocprim17ROCPRIM_400000_NS6detail17trampoline_kernelINS0_14default_configENS1_22reduce_config_selectorIN6thrust23THRUST_200600_302600_NS5tupleIbffNS6_9null_typeES8_S8_S8_S8_S8_S8_EEEEZNS1_11reduce_implILb1ES3_PS9_SC_S9_12reduce_tupleIifEEE10hipError_tPvRmT1_T2_T3_mT4_P12ihipStream_tbEUlT_E0_NS1_11comp_targetILNS1_3genE2ELNS1_11target_archE906ELNS1_3gpuE6ELNS1_3repE0EEENS1_30default_config_static_selectorELNS0_4arch9wavefront6targetE1EEEvSI_
	.p2align	8
	.type	_ZN7rocprim17ROCPRIM_400000_NS6detail17trampoline_kernelINS0_14default_configENS1_22reduce_config_selectorIN6thrust23THRUST_200600_302600_NS5tupleIbffNS6_9null_typeES8_S8_S8_S8_S8_S8_EEEEZNS1_11reduce_implILb1ES3_PS9_SC_S9_12reduce_tupleIifEEE10hipError_tPvRmT1_T2_T3_mT4_P12ihipStream_tbEUlT_E0_NS1_11comp_targetILNS1_3genE2ELNS1_11target_archE906ELNS1_3gpuE6ELNS1_3repE0EEENS1_30default_config_static_selectorELNS0_4arch9wavefront6targetE1EEEvSI_,@function
_ZN7rocprim17ROCPRIM_400000_NS6detail17trampoline_kernelINS0_14default_configENS1_22reduce_config_selectorIN6thrust23THRUST_200600_302600_NS5tupleIbffNS6_9null_typeES8_S8_S8_S8_S8_S8_EEEEZNS1_11reduce_implILb1ES3_PS9_SC_S9_12reduce_tupleIifEEE10hipError_tPvRmT1_T2_T3_mT4_P12ihipStream_tbEUlT_E0_NS1_11comp_targetILNS1_3genE2ELNS1_11target_archE906ELNS1_3gpuE6ELNS1_3repE0EEENS1_30default_config_static_selectorELNS0_4arch9wavefront6targetE1EEEvSI_: ; @_ZN7rocprim17ROCPRIM_400000_NS6detail17trampoline_kernelINS0_14default_configENS1_22reduce_config_selectorIN6thrust23THRUST_200600_302600_NS5tupleIbffNS6_9null_typeES8_S8_S8_S8_S8_S8_EEEEZNS1_11reduce_implILb1ES3_PS9_SC_S9_12reduce_tupleIifEEE10hipError_tPvRmT1_T2_T3_mT4_P12ihipStream_tbEUlT_E0_NS1_11comp_targetILNS1_3genE2ELNS1_11target_archE906ELNS1_3gpuE6ELNS1_3repE0EEENS1_30default_config_static_selectorELNS0_4arch9wavefront6targetE1EEEvSI_
; %bb.0:
	.section	.rodata,"a",@progbits
	.p2align	6, 0x0
	.amdhsa_kernel _ZN7rocprim17ROCPRIM_400000_NS6detail17trampoline_kernelINS0_14default_configENS1_22reduce_config_selectorIN6thrust23THRUST_200600_302600_NS5tupleIbffNS6_9null_typeES8_S8_S8_S8_S8_S8_EEEEZNS1_11reduce_implILb1ES3_PS9_SC_S9_12reduce_tupleIifEEE10hipError_tPvRmT1_T2_T3_mT4_P12ihipStream_tbEUlT_E0_NS1_11comp_targetILNS1_3genE2ELNS1_11target_archE906ELNS1_3gpuE6ELNS1_3repE0EEENS1_30default_config_static_selectorELNS0_4arch9wavefront6targetE1EEEvSI_
		.amdhsa_group_segment_fixed_size 0
		.amdhsa_private_segment_fixed_size 0
		.amdhsa_kernarg_size 64
		.amdhsa_user_sgpr_count 6
		.amdhsa_user_sgpr_private_segment_buffer 1
		.amdhsa_user_sgpr_dispatch_ptr 0
		.amdhsa_user_sgpr_queue_ptr 0
		.amdhsa_user_sgpr_kernarg_segment_ptr 1
		.amdhsa_user_sgpr_dispatch_id 0
		.amdhsa_user_sgpr_flat_scratch_init 0
		.amdhsa_user_sgpr_kernarg_preload_length 0
		.amdhsa_user_sgpr_kernarg_preload_offset 0
		.amdhsa_user_sgpr_private_segment_size 0
		.amdhsa_uses_dynamic_stack 0
		.amdhsa_system_sgpr_private_segment_wavefront_offset 0
		.amdhsa_system_sgpr_workgroup_id_x 1
		.amdhsa_system_sgpr_workgroup_id_y 0
		.amdhsa_system_sgpr_workgroup_id_z 0
		.amdhsa_system_sgpr_workgroup_info 0
		.amdhsa_system_vgpr_workitem_id 0
		.amdhsa_next_free_vgpr 1
		.amdhsa_next_free_sgpr 0
		.amdhsa_accum_offset 4
		.amdhsa_reserve_vcc 0
		.amdhsa_reserve_flat_scratch 0
		.amdhsa_float_round_mode_32 0
		.amdhsa_float_round_mode_16_64 0
		.amdhsa_float_denorm_mode_32 3
		.amdhsa_float_denorm_mode_16_64 3
		.amdhsa_dx10_clamp 1
		.amdhsa_ieee_mode 1
		.amdhsa_fp16_overflow 0
		.amdhsa_tg_split 0
		.amdhsa_exception_fp_ieee_invalid_op 0
		.amdhsa_exception_fp_denorm_src 0
		.amdhsa_exception_fp_ieee_div_zero 0
		.amdhsa_exception_fp_ieee_overflow 0
		.amdhsa_exception_fp_ieee_underflow 0
		.amdhsa_exception_fp_ieee_inexact 0
		.amdhsa_exception_int_div_zero 0
	.end_amdhsa_kernel
	.section	.text._ZN7rocprim17ROCPRIM_400000_NS6detail17trampoline_kernelINS0_14default_configENS1_22reduce_config_selectorIN6thrust23THRUST_200600_302600_NS5tupleIbffNS6_9null_typeES8_S8_S8_S8_S8_S8_EEEEZNS1_11reduce_implILb1ES3_PS9_SC_S9_12reduce_tupleIifEEE10hipError_tPvRmT1_T2_T3_mT4_P12ihipStream_tbEUlT_E0_NS1_11comp_targetILNS1_3genE2ELNS1_11target_archE906ELNS1_3gpuE6ELNS1_3repE0EEENS1_30default_config_static_selectorELNS0_4arch9wavefront6targetE1EEEvSI_,"axG",@progbits,_ZN7rocprim17ROCPRIM_400000_NS6detail17trampoline_kernelINS0_14default_configENS1_22reduce_config_selectorIN6thrust23THRUST_200600_302600_NS5tupleIbffNS6_9null_typeES8_S8_S8_S8_S8_S8_EEEEZNS1_11reduce_implILb1ES3_PS9_SC_S9_12reduce_tupleIifEEE10hipError_tPvRmT1_T2_T3_mT4_P12ihipStream_tbEUlT_E0_NS1_11comp_targetILNS1_3genE2ELNS1_11target_archE906ELNS1_3gpuE6ELNS1_3repE0EEENS1_30default_config_static_selectorELNS0_4arch9wavefront6targetE1EEEvSI_,comdat
.Lfunc_end5:
	.size	_ZN7rocprim17ROCPRIM_400000_NS6detail17trampoline_kernelINS0_14default_configENS1_22reduce_config_selectorIN6thrust23THRUST_200600_302600_NS5tupleIbffNS6_9null_typeES8_S8_S8_S8_S8_S8_EEEEZNS1_11reduce_implILb1ES3_PS9_SC_S9_12reduce_tupleIifEEE10hipError_tPvRmT1_T2_T3_mT4_P12ihipStream_tbEUlT_E0_NS1_11comp_targetILNS1_3genE2ELNS1_11target_archE906ELNS1_3gpuE6ELNS1_3repE0EEENS1_30default_config_static_selectorELNS0_4arch9wavefront6targetE1EEEvSI_, .Lfunc_end5-_ZN7rocprim17ROCPRIM_400000_NS6detail17trampoline_kernelINS0_14default_configENS1_22reduce_config_selectorIN6thrust23THRUST_200600_302600_NS5tupleIbffNS6_9null_typeES8_S8_S8_S8_S8_S8_EEEEZNS1_11reduce_implILb1ES3_PS9_SC_S9_12reduce_tupleIifEEE10hipError_tPvRmT1_T2_T3_mT4_P12ihipStream_tbEUlT_E0_NS1_11comp_targetILNS1_3genE2ELNS1_11target_archE906ELNS1_3gpuE6ELNS1_3repE0EEENS1_30default_config_static_selectorELNS0_4arch9wavefront6targetE1EEEvSI_
                                        ; -- End function
	.section	.AMDGPU.csdata,"",@progbits
; Kernel info:
; codeLenInByte = 0
; NumSgprs: 4
; NumVgprs: 0
; NumAgprs: 0
; TotalNumVgprs: 0
; ScratchSize: 0
; MemoryBound: 0
; FloatMode: 240
; IeeeMode: 1
; LDSByteSize: 0 bytes/workgroup (compile time only)
; SGPRBlocks: 0
; VGPRBlocks: 0
; NumSGPRsForWavesPerEU: 4
; NumVGPRsForWavesPerEU: 1
; AccumOffset: 4
; Occupancy: 8
; WaveLimiterHint : 0
; COMPUTE_PGM_RSRC2:SCRATCH_EN: 0
; COMPUTE_PGM_RSRC2:USER_SGPR: 6
; COMPUTE_PGM_RSRC2:TRAP_HANDLER: 0
; COMPUTE_PGM_RSRC2:TGID_X_EN: 1
; COMPUTE_PGM_RSRC2:TGID_Y_EN: 0
; COMPUTE_PGM_RSRC2:TGID_Z_EN: 0
; COMPUTE_PGM_RSRC2:TIDIG_COMP_CNT: 0
; COMPUTE_PGM_RSRC3_GFX90A:ACCUM_OFFSET: 0
; COMPUTE_PGM_RSRC3_GFX90A:TG_SPLIT: 0
	.section	.text._ZN7rocprim17ROCPRIM_400000_NS6detail17trampoline_kernelINS0_14default_configENS1_22reduce_config_selectorIN6thrust23THRUST_200600_302600_NS5tupleIbffNS6_9null_typeES8_S8_S8_S8_S8_S8_EEEEZNS1_11reduce_implILb1ES3_PS9_SC_S9_12reduce_tupleIifEEE10hipError_tPvRmT1_T2_T3_mT4_P12ihipStream_tbEUlT_E0_NS1_11comp_targetILNS1_3genE10ELNS1_11target_archE1201ELNS1_3gpuE5ELNS1_3repE0EEENS1_30default_config_static_selectorELNS0_4arch9wavefront6targetE1EEEvSI_,"axG",@progbits,_ZN7rocprim17ROCPRIM_400000_NS6detail17trampoline_kernelINS0_14default_configENS1_22reduce_config_selectorIN6thrust23THRUST_200600_302600_NS5tupleIbffNS6_9null_typeES8_S8_S8_S8_S8_S8_EEEEZNS1_11reduce_implILb1ES3_PS9_SC_S9_12reduce_tupleIifEEE10hipError_tPvRmT1_T2_T3_mT4_P12ihipStream_tbEUlT_E0_NS1_11comp_targetILNS1_3genE10ELNS1_11target_archE1201ELNS1_3gpuE5ELNS1_3repE0EEENS1_30default_config_static_selectorELNS0_4arch9wavefront6targetE1EEEvSI_,comdat
	.protected	_ZN7rocprim17ROCPRIM_400000_NS6detail17trampoline_kernelINS0_14default_configENS1_22reduce_config_selectorIN6thrust23THRUST_200600_302600_NS5tupleIbffNS6_9null_typeES8_S8_S8_S8_S8_S8_EEEEZNS1_11reduce_implILb1ES3_PS9_SC_S9_12reduce_tupleIifEEE10hipError_tPvRmT1_T2_T3_mT4_P12ihipStream_tbEUlT_E0_NS1_11comp_targetILNS1_3genE10ELNS1_11target_archE1201ELNS1_3gpuE5ELNS1_3repE0EEENS1_30default_config_static_selectorELNS0_4arch9wavefront6targetE1EEEvSI_ ; -- Begin function _ZN7rocprim17ROCPRIM_400000_NS6detail17trampoline_kernelINS0_14default_configENS1_22reduce_config_selectorIN6thrust23THRUST_200600_302600_NS5tupleIbffNS6_9null_typeES8_S8_S8_S8_S8_S8_EEEEZNS1_11reduce_implILb1ES3_PS9_SC_S9_12reduce_tupleIifEEE10hipError_tPvRmT1_T2_T3_mT4_P12ihipStream_tbEUlT_E0_NS1_11comp_targetILNS1_3genE10ELNS1_11target_archE1201ELNS1_3gpuE5ELNS1_3repE0EEENS1_30default_config_static_selectorELNS0_4arch9wavefront6targetE1EEEvSI_
	.globl	_ZN7rocprim17ROCPRIM_400000_NS6detail17trampoline_kernelINS0_14default_configENS1_22reduce_config_selectorIN6thrust23THRUST_200600_302600_NS5tupleIbffNS6_9null_typeES8_S8_S8_S8_S8_S8_EEEEZNS1_11reduce_implILb1ES3_PS9_SC_S9_12reduce_tupleIifEEE10hipError_tPvRmT1_T2_T3_mT4_P12ihipStream_tbEUlT_E0_NS1_11comp_targetILNS1_3genE10ELNS1_11target_archE1201ELNS1_3gpuE5ELNS1_3repE0EEENS1_30default_config_static_selectorELNS0_4arch9wavefront6targetE1EEEvSI_
	.p2align	8
	.type	_ZN7rocprim17ROCPRIM_400000_NS6detail17trampoline_kernelINS0_14default_configENS1_22reduce_config_selectorIN6thrust23THRUST_200600_302600_NS5tupleIbffNS6_9null_typeES8_S8_S8_S8_S8_S8_EEEEZNS1_11reduce_implILb1ES3_PS9_SC_S9_12reduce_tupleIifEEE10hipError_tPvRmT1_T2_T3_mT4_P12ihipStream_tbEUlT_E0_NS1_11comp_targetILNS1_3genE10ELNS1_11target_archE1201ELNS1_3gpuE5ELNS1_3repE0EEENS1_30default_config_static_selectorELNS0_4arch9wavefront6targetE1EEEvSI_,@function
_ZN7rocprim17ROCPRIM_400000_NS6detail17trampoline_kernelINS0_14default_configENS1_22reduce_config_selectorIN6thrust23THRUST_200600_302600_NS5tupleIbffNS6_9null_typeES8_S8_S8_S8_S8_S8_EEEEZNS1_11reduce_implILb1ES3_PS9_SC_S9_12reduce_tupleIifEEE10hipError_tPvRmT1_T2_T3_mT4_P12ihipStream_tbEUlT_E0_NS1_11comp_targetILNS1_3genE10ELNS1_11target_archE1201ELNS1_3gpuE5ELNS1_3repE0EEENS1_30default_config_static_selectorELNS0_4arch9wavefront6targetE1EEEvSI_: ; @_ZN7rocprim17ROCPRIM_400000_NS6detail17trampoline_kernelINS0_14default_configENS1_22reduce_config_selectorIN6thrust23THRUST_200600_302600_NS5tupleIbffNS6_9null_typeES8_S8_S8_S8_S8_S8_EEEEZNS1_11reduce_implILb1ES3_PS9_SC_S9_12reduce_tupleIifEEE10hipError_tPvRmT1_T2_T3_mT4_P12ihipStream_tbEUlT_E0_NS1_11comp_targetILNS1_3genE10ELNS1_11target_archE1201ELNS1_3gpuE5ELNS1_3repE0EEENS1_30default_config_static_selectorELNS0_4arch9wavefront6targetE1EEEvSI_
; %bb.0:
	.section	.rodata,"a",@progbits
	.p2align	6, 0x0
	.amdhsa_kernel _ZN7rocprim17ROCPRIM_400000_NS6detail17trampoline_kernelINS0_14default_configENS1_22reduce_config_selectorIN6thrust23THRUST_200600_302600_NS5tupleIbffNS6_9null_typeES8_S8_S8_S8_S8_S8_EEEEZNS1_11reduce_implILb1ES3_PS9_SC_S9_12reduce_tupleIifEEE10hipError_tPvRmT1_T2_T3_mT4_P12ihipStream_tbEUlT_E0_NS1_11comp_targetILNS1_3genE10ELNS1_11target_archE1201ELNS1_3gpuE5ELNS1_3repE0EEENS1_30default_config_static_selectorELNS0_4arch9wavefront6targetE1EEEvSI_
		.amdhsa_group_segment_fixed_size 0
		.amdhsa_private_segment_fixed_size 0
		.amdhsa_kernarg_size 64
		.amdhsa_user_sgpr_count 6
		.amdhsa_user_sgpr_private_segment_buffer 1
		.amdhsa_user_sgpr_dispatch_ptr 0
		.amdhsa_user_sgpr_queue_ptr 0
		.amdhsa_user_sgpr_kernarg_segment_ptr 1
		.amdhsa_user_sgpr_dispatch_id 0
		.amdhsa_user_sgpr_flat_scratch_init 0
		.amdhsa_user_sgpr_kernarg_preload_length 0
		.amdhsa_user_sgpr_kernarg_preload_offset 0
		.amdhsa_user_sgpr_private_segment_size 0
		.amdhsa_uses_dynamic_stack 0
		.amdhsa_system_sgpr_private_segment_wavefront_offset 0
		.amdhsa_system_sgpr_workgroup_id_x 1
		.amdhsa_system_sgpr_workgroup_id_y 0
		.amdhsa_system_sgpr_workgroup_id_z 0
		.amdhsa_system_sgpr_workgroup_info 0
		.amdhsa_system_vgpr_workitem_id 0
		.amdhsa_next_free_vgpr 1
		.amdhsa_next_free_sgpr 0
		.amdhsa_accum_offset 4
		.amdhsa_reserve_vcc 0
		.amdhsa_reserve_flat_scratch 0
		.amdhsa_float_round_mode_32 0
		.amdhsa_float_round_mode_16_64 0
		.amdhsa_float_denorm_mode_32 3
		.amdhsa_float_denorm_mode_16_64 3
		.amdhsa_dx10_clamp 1
		.amdhsa_ieee_mode 1
		.amdhsa_fp16_overflow 0
		.amdhsa_tg_split 0
		.amdhsa_exception_fp_ieee_invalid_op 0
		.amdhsa_exception_fp_denorm_src 0
		.amdhsa_exception_fp_ieee_div_zero 0
		.amdhsa_exception_fp_ieee_overflow 0
		.amdhsa_exception_fp_ieee_underflow 0
		.amdhsa_exception_fp_ieee_inexact 0
		.amdhsa_exception_int_div_zero 0
	.end_amdhsa_kernel
	.section	.text._ZN7rocprim17ROCPRIM_400000_NS6detail17trampoline_kernelINS0_14default_configENS1_22reduce_config_selectorIN6thrust23THRUST_200600_302600_NS5tupleIbffNS6_9null_typeES8_S8_S8_S8_S8_S8_EEEEZNS1_11reduce_implILb1ES3_PS9_SC_S9_12reduce_tupleIifEEE10hipError_tPvRmT1_T2_T3_mT4_P12ihipStream_tbEUlT_E0_NS1_11comp_targetILNS1_3genE10ELNS1_11target_archE1201ELNS1_3gpuE5ELNS1_3repE0EEENS1_30default_config_static_selectorELNS0_4arch9wavefront6targetE1EEEvSI_,"axG",@progbits,_ZN7rocprim17ROCPRIM_400000_NS6detail17trampoline_kernelINS0_14default_configENS1_22reduce_config_selectorIN6thrust23THRUST_200600_302600_NS5tupleIbffNS6_9null_typeES8_S8_S8_S8_S8_S8_EEEEZNS1_11reduce_implILb1ES3_PS9_SC_S9_12reduce_tupleIifEEE10hipError_tPvRmT1_T2_T3_mT4_P12ihipStream_tbEUlT_E0_NS1_11comp_targetILNS1_3genE10ELNS1_11target_archE1201ELNS1_3gpuE5ELNS1_3repE0EEENS1_30default_config_static_selectorELNS0_4arch9wavefront6targetE1EEEvSI_,comdat
.Lfunc_end6:
	.size	_ZN7rocprim17ROCPRIM_400000_NS6detail17trampoline_kernelINS0_14default_configENS1_22reduce_config_selectorIN6thrust23THRUST_200600_302600_NS5tupleIbffNS6_9null_typeES8_S8_S8_S8_S8_S8_EEEEZNS1_11reduce_implILb1ES3_PS9_SC_S9_12reduce_tupleIifEEE10hipError_tPvRmT1_T2_T3_mT4_P12ihipStream_tbEUlT_E0_NS1_11comp_targetILNS1_3genE10ELNS1_11target_archE1201ELNS1_3gpuE5ELNS1_3repE0EEENS1_30default_config_static_selectorELNS0_4arch9wavefront6targetE1EEEvSI_, .Lfunc_end6-_ZN7rocprim17ROCPRIM_400000_NS6detail17trampoline_kernelINS0_14default_configENS1_22reduce_config_selectorIN6thrust23THRUST_200600_302600_NS5tupleIbffNS6_9null_typeES8_S8_S8_S8_S8_S8_EEEEZNS1_11reduce_implILb1ES3_PS9_SC_S9_12reduce_tupleIifEEE10hipError_tPvRmT1_T2_T3_mT4_P12ihipStream_tbEUlT_E0_NS1_11comp_targetILNS1_3genE10ELNS1_11target_archE1201ELNS1_3gpuE5ELNS1_3repE0EEENS1_30default_config_static_selectorELNS0_4arch9wavefront6targetE1EEEvSI_
                                        ; -- End function
	.section	.AMDGPU.csdata,"",@progbits
; Kernel info:
; codeLenInByte = 0
; NumSgprs: 4
; NumVgprs: 0
; NumAgprs: 0
; TotalNumVgprs: 0
; ScratchSize: 0
; MemoryBound: 0
; FloatMode: 240
; IeeeMode: 1
; LDSByteSize: 0 bytes/workgroup (compile time only)
; SGPRBlocks: 0
; VGPRBlocks: 0
; NumSGPRsForWavesPerEU: 4
; NumVGPRsForWavesPerEU: 1
; AccumOffset: 4
; Occupancy: 8
; WaveLimiterHint : 0
; COMPUTE_PGM_RSRC2:SCRATCH_EN: 0
; COMPUTE_PGM_RSRC2:USER_SGPR: 6
; COMPUTE_PGM_RSRC2:TRAP_HANDLER: 0
; COMPUTE_PGM_RSRC2:TGID_X_EN: 1
; COMPUTE_PGM_RSRC2:TGID_Y_EN: 0
; COMPUTE_PGM_RSRC2:TGID_Z_EN: 0
; COMPUTE_PGM_RSRC2:TIDIG_COMP_CNT: 0
; COMPUTE_PGM_RSRC3_GFX90A:ACCUM_OFFSET: 0
; COMPUTE_PGM_RSRC3_GFX90A:TG_SPLIT: 0
	.section	.text._ZN7rocprim17ROCPRIM_400000_NS6detail17trampoline_kernelINS0_14default_configENS1_22reduce_config_selectorIN6thrust23THRUST_200600_302600_NS5tupleIbffNS6_9null_typeES8_S8_S8_S8_S8_S8_EEEEZNS1_11reduce_implILb1ES3_PS9_SC_S9_12reduce_tupleIifEEE10hipError_tPvRmT1_T2_T3_mT4_P12ihipStream_tbEUlT_E0_NS1_11comp_targetILNS1_3genE10ELNS1_11target_archE1200ELNS1_3gpuE4ELNS1_3repE0EEENS1_30default_config_static_selectorELNS0_4arch9wavefront6targetE1EEEvSI_,"axG",@progbits,_ZN7rocprim17ROCPRIM_400000_NS6detail17trampoline_kernelINS0_14default_configENS1_22reduce_config_selectorIN6thrust23THRUST_200600_302600_NS5tupleIbffNS6_9null_typeES8_S8_S8_S8_S8_S8_EEEEZNS1_11reduce_implILb1ES3_PS9_SC_S9_12reduce_tupleIifEEE10hipError_tPvRmT1_T2_T3_mT4_P12ihipStream_tbEUlT_E0_NS1_11comp_targetILNS1_3genE10ELNS1_11target_archE1200ELNS1_3gpuE4ELNS1_3repE0EEENS1_30default_config_static_selectorELNS0_4arch9wavefront6targetE1EEEvSI_,comdat
	.protected	_ZN7rocprim17ROCPRIM_400000_NS6detail17trampoline_kernelINS0_14default_configENS1_22reduce_config_selectorIN6thrust23THRUST_200600_302600_NS5tupleIbffNS6_9null_typeES8_S8_S8_S8_S8_S8_EEEEZNS1_11reduce_implILb1ES3_PS9_SC_S9_12reduce_tupleIifEEE10hipError_tPvRmT1_T2_T3_mT4_P12ihipStream_tbEUlT_E0_NS1_11comp_targetILNS1_3genE10ELNS1_11target_archE1200ELNS1_3gpuE4ELNS1_3repE0EEENS1_30default_config_static_selectorELNS0_4arch9wavefront6targetE1EEEvSI_ ; -- Begin function _ZN7rocprim17ROCPRIM_400000_NS6detail17trampoline_kernelINS0_14default_configENS1_22reduce_config_selectorIN6thrust23THRUST_200600_302600_NS5tupleIbffNS6_9null_typeES8_S8_S8_S8_S8_S8_EEEEZNS1_11reduce_implILb1ES3_PS9_SC_S9_12reduce_tupleIifEEE10hipError_tPvRmT1_T2_T3_mT4_P12ihipStream_tbEUlT_E0_NS1_11comp_targetILNS1_3genE10ELNS1_11target_archE1200ELNS1_3gpuE4ELNS1_3repE0EEENS1_30default_config_static_selectorELNS0_4arch9wavefront6targetE1EEEvSI_
	.globl	_ZN7rocprim17ROCPRIM_400000_NS6detail17trampoline_kernelINS0_14default_configENS1_22reduce_config_selectorIN6thrust23THRUST_200600_302600_NS5tupleIbffNS6_9null_typeES8_S8_S8_S8_S8_S8_EEEEZNS1_11reduce_implILb1ES3_PS9_SC_S9_12reduce_tupleIifEEE10hipError_tPvRmT1_T2_T3_mT4_P12ihipStream_tbEUlT_E0_NS1_11comp_targetILNS1_3genE10ELNS1_11target_archE1200ELNS1_3gpuE4ELNS1_3repE0EEENS1_30default_config_static_selectorELNS0_4arch9wavefront6targetE1EEEvSI_
	.p2align	8
	.type	_ZN7rocprim17ROCPRIM_400000_NS6detail17trampoline_kernelINS0_14default_configENS1_22reduce_config_selectorIN6thrust23THRUST_200600_302600_NS5tupleIbffNS6_9null_typeES8_S8_S8_S8_S8_S8_EEEEZNS1_11reduce_implILb1ES3_PS9_SC_S9_12reduce_tupleIifEEE10hipError_tPvRmT1_T2_T3_mT4_P12ihipStream_tbEUlT_E0_NS1_11comp_targetILNS1_3genE10ELNS1_11target_archE1200ELNS1_3gpuE4ELNS1_3repE0EEENS1_30default_config_static_selectorELNS0_4arch9wavefront6targetE1EEEvSI_,@function
_ZN7rocprim17ROCPRIM_400000_NS6detail17trampoline_kernelINS0_14default_configENS1_22reduce_config_selectorIN6thrust23THRUST_200600_302600_NS5tupleIbffNS6_9null_typeES8_S8_S8_S8_S8_S8_EEEEZNS1_11reduce_implILb1ES3_PS9_SC_S9_12reduce_tupleIifEEE10hipError_tPvRmT1_T2_T3_mT4_P12ihipStream_tbEUlT_E0_NS1_11comp_targetILNS1_3genE10ELNS1_11target_archE1200ELNS1_3gpuE4ELNS1_3repE0EEENS1_30default_config_static_selectorELNS0_4arch9wavefront6targetE1EEEvSI_: ; @_ZN7rocprim17ROCPRIM_400000_NS6detail17trampoline_kernelINS0_14default_configENS1_22reduce_config_selectorIN6thrust23THRUST_200600_302600_NS5tupleIbffNS6_9null_typeES8_S8_S8_S8_S8_S8_EEEEZNS1_11reduce_implILb1ES3_PS9_SC_S9_12reduce_tupleIifEEE10hipError_tPvRmT1_T2_T3_mT4_P12ihipStream_tbEUlT_E0_NS1_11comp_targetILNS1_3genE10ELNS1_11target_archE1200ELNS1_3gpuE4ELNS1_3repE0EEENS1_30default_config_static_selectorELNS0_4arch9wavefront6targetE1EEEvSI_
; %bb.0:
	.section	.rodata,"a",@progbits
	.p2align	6, 0x0
	.amdhsa_kernel _ZN7rocprim17ROCPRIM_400000_NS6detail17trampoline_kernelINS0_14default_configENS1_22reduce_config_selectorIN6thrust23THRUST_200600_302600_NS5tupleIbffNS6_9null_typeES8_S8_S8_S8_S8_S8_EEEEZNS1_11reduce_implILb1ES3_PS9_SC_S9_12reduce_tupleIifEEE10hipError_tPvRmT1_T2_T3_mT4_P12ihipStream_tbEUlT_E0_NS1_11comp_targetILNS1_3genE10ELNS1_11target_archE1200ELNS1_3gpuE4ELNS1_3repE0EEENS1_30default_config_static_selectorELNS0_4arch9wavefront6targetE1EEEvSI_
		.amdhsa_group_segment_fixed_size 0
		.amdhsa_private_segment_fixed_size 0
		.amdhsa_kernarg_size 64
		.amdhsa_user_sgpr_count 6
		.amdhsa_user_sgpr_private_segment_buffer 1
		.amdhsa_user_sgpr_dispatch_ptr 0
		.amdhsa_user_sgpr_queue_ptr 0
		.amdhsa_user_sgpr_kernarg_segment_ptr 1
		.amdhsa_user_sgpr_dispatch_id 0
		.amdhsa_user_sgpr_flat_scratch_init 0
		.amdhsa_user_sgpr_kernarg_preload_length 0
		.amdhsa_user_sgpr_kernarg_preload_offset 0
		.amdhsa_user_sgpr_private_segment_size 0
		.amdhsa_uses_dynamic_stack 0
		.amdhsa_system_sgpr_private_segment_wavefront_offset 0
		.amdhsa_system_sgpr_workgroup_id_x 1
		.amdhsa_system_sgpr_workgroup_id_y 0
		.amdhsa_system_sgpr_workgroup_id_z 0
		.amdhsa_system_sgpr_workgroup_info 0
		.amdhsa_system_vgpr_workitem_id 0
		.amdhsa_next_free_vgpr 1
		.amdhsa_next_free_sgpr 0
		.amdhsa_accum_offset 4
		.amdhsa_reserve_vcc 0
		.amdhsa_reserve_flat_scratch 0
		.amdhsa_float_round_mode_32 0
		.amdhsa_float_round_mode_16_64 0
		.amdhsa_float_denorm_mode_32 3
		.amdhsa_float_denorm_mode_16_64 3
		.amdhsa_dx10_clamp 1
		.amdhsa_ieee_mode 1
		.amdhsa_fp16_overflow 0
		.amdhsa_tg_split 0
		.amdhsa_exception_fp_ieee_invalid_op 0
		.amdhsa_exception_fp_denorm_src 0
		.amdhsa_exception_fp_ieee_div_zero 0
		.amdhsa_exception_fp_ieee_overflow 0
		.amdhsa_exception_fp_ieee_underflow 0
		.amdhsa_exception_fp_ieee_inexact 0
		.amdhsa_exception_int_div_zero 0
	.end_amdhsa_kernel
	.section	.text._ZN7rocprim17ROCPRIM_400000_NS6detail17trampoline_kernelINS0_14default_configENS1_22reduce_config_selectorIN6thrust23THRUST_200600_302600_NS5tupleIbffNS6_9null_typeES8_S8_S8_S8_S8_S8_EEEEZNS1_11reduce_implILb1ES3_PS9_SC_S9_12reduce_tupleIifEEE10hipError_tPvRmT1_T2_T3_mT4_P12ihipStream_tbEUlT_E0_NS1_11comp_targetILNS1_3genE10ELNS1_11target_archE1200ELNS1_3gpuE4ELNS1_3repE0EEENS1_30default_config_static_selectorELNS0_4arch9wavefront6targetE1EEEvSI_,"axG",@progbits,_ZN7rocprim17ROCPRIM_400000_NS6detail17trampoline_kernelINS0_14default_configENS1_22reduce_config_selectorIN6thrust23THRUST_200600_302600_NS5tupleIbffNS6_9null_typeES8_S8_S8_S8_S8_S8_EEEEZNS1_11reduce_implILb1ES3_PS9_SC_S9_12reduce_tupleIifEEE10hipError_tPvRmT1_T2_T3_mT4_P12ihipStream_tbEUlT_E0_NS1_11comp_targetILNS1_3genE10ELNS1_11target_archE1200ELNS1_3gpuE4ELNS1_3repE0EEENS1_30default_config_static_selectorELNS0_4arch9wavefront6targetE1EEEvSI_,comdat
.Lfunc_end7:
	.size	_ZN7rocprim17ROCPRIM_400000_NS6detail17trampoline_kernelINS0_14default_configENS1_22reduce_config_selectorIN6thrust23THRUST_200600_302600_NS5tupleIbffNS6_9null_typeES8_S8_S8_S8_S8_S8_EEEEZNS1_11reduce_implILb1ES3_PS9_SC_S9_12reduce_tupleIifEEE10hipError_tPvRmT1_T2_T3_mT4_P12ihipStream_tbEUlT_E0_NS1_11comp_targetILNS1_3genE10ELNS1_11target_archE1200ELNS1_3gpuE4ELNS1_3repE0EEENS1_30default_config_static_selectorELNS0_4arch9wavefront6targetE1EEEvSI_, .Lfunc_end7-_ZN7rocprim17ROCPRIM_400000_NS6detail17trampoline_kernelINS0_14default_configENS1_22reduce_config_selectorIN6thrust23THRUST_200600_302600_NS5tupleIbffNS6_9null_typeES8_S8_S8_S8_S8_S8_EEEEZNS1_11reduce_implILb1ES3_PS9_SC_S9_12reduce_tupleIifEEE10hipError_tPvRmT1_T2_T3_mT4_P12ihipStream_tbEUlT_E0_NS1_11comp_targetILNS1_3genE10ELNS1_11target_archE1200ELNS1_3gpuE4ELNS1_3repE0EEENS1_30default_config_static_selectorELNS0_4arch9wavefront6targetE1EEEvSI_
                                        ; -- End function
	.section	.AMDGPU.csdata,"",@progbits
; Kernel info:
; codeLenInByte = 0
; NumSgprs: 4
; NumVgprs: 0
; NumAgprs: 0
; TotalNumVgprs: 0
; ScratchSize: 0
; MemoryBound: 0
; FloatMode: 240
; IeeeMode: 1
; LDSByteSize: 0 bytes/workgroup (compile time only)
; SGPRBlocks: 0
; VGPRBlocks: 0
; NumSGPRsForWavesPerEU: 4
; NumVGPRsForWavesPerEU: 1
; AccumOffset: 4
; Occupancy: 8
; WaveLimiterHint : 0
; COMPUTE_PGM_RSRC2:SCRATCH_EN: 0
; COMPUTE_PGM_RSRC2:USER_SGPR: 6
; COMPUTE_PGM_RSRC2:TRAP_HANDLER: 0
; COMPUTE_PGM_RSRC2:TGID_X_EN: 1
; COMPUTE_PGM_RSRC2:TGID_Y_EN: 0
; COMPUTE_PGM_RSRC2:TGID_Z_EN: 0
; COMPUTE_PGM_RSRC2:TIDIG_COMP_CNT: 0
; COMPUTE_PGM_RSRC3_GFX90A:ACCUM_OFFSET: 0
; COMPUTE_PGM_RSRC3_GFX90A:TG_SPLIT: 0
	.section	.text._ZN7rocprim17ROCPRIM_400000_NS6detail17trampoline_kernelINS0_14default_configENS1_22reduce_config_selectorIN6thrust23THRUST_200600_302600_NS5tupleIbffNS6_9null_typeES8_S8_S8_S8_S8_S8_EEEEZNS1_11reduce_implILb1ES3_PS9_SC_S9_12reduce_tupleIifEEE10hipError_tPvRmT1_T2_T3_mT4_P12ihipStream_tbEUlT_E0_NS1_11comp_targetILNS1_3genE9ELNS1_11target_archE1100ELNS1_3gpuE3ELNS1_3repE0EEENS1_30default_config_static_selectorELNS0_4arch9wavefront6targetE1EEEvSI_,"axG",@progbits,_ZN7rocprim17ROCPRIM_400000_NS6detail17trampoline_kernelINS0_14default_configENS1_22reduce_config_selectorIN6thrust23THRUST_200600_302600_NS5tupleIbffNS6_9null_typeES8_S8_S8_S8_S8_S8_EEEEZNS1_11reduce_implILb1ES3_PS9_SC_S9_12reduce_tupleIifEEE10hipError_tPvRmT1_T2_T3_mT4_P12ihipStream_tbEUlT_E0_NS1_11comp_targetILNS1_3genE9ELNS1_11target_archE1100ELNS1_3gpuE3ELNS1_3repE0EEENS1_30default_config_static_selectorELNS0_4arch9wavefront6targetE1EEEvSI_,comdat
	.protected	_ZN7rocprim17ROCPRIM_400000_NS6detail17trampoline_kernelINS0_14default_configENS1_22reduce_config_selectorIN6thrust23THRUST_200600_302600_NS5tupleIbffNS6_9null_typeES8_S8_S8_S8_S8_S8_EEEEZNS1_11reduce_implILb1ES3_PS9_SC_S9_12reduce_tupleIifEEE10hipError_tPvRmT1_T2_T3_mT4_P12ihipStream_tbEUlT_E0_NS1_11comp_targetILNS1_3genE9ELNS1_11target_archE1100ELNS1_3gpuE3ELNS1_3repE0EEENS1_30default_config_static_selectorELNS0_4arch9wavefront6targetE1EEEvSI_ ; -- Begin function _ZN7rocprim17ROCPRIM_400000_NS6detail17trampoline_kernelINS0_14default_configENS1_22reduce_config_selectorIN6thrust23THRUST_200600_302600_NS5tupleIbffNS6_9null_typeES8_S8_S8_S8_S8_S8_EEEEZNS1_11reduce_implILb1ES3_PS9_SC_S9_12reduce_tupleIifEEE10hipError_tPvRmT1_T2_T3_mT4_P12ihipStream_tbEUlT_E0_NS1_11comp_targetILNS1_3genE9ELNS1_11target_archE1100ELNS1_3gpuE3ELNS1_3repE0EEENS1_30default_config_static_selectorELNS0_4arch9wavefront6targetE1EEEvSI_
	.globl	_ZN7rocprim17ROCPRIM_400000_NS6detail17trampoline_kernelINS0_14default_configENS1_22reduce_config_selectorIN6thrust23THRUST_200600_302600_NS5tupleIbffNS6_9null_typeES8_S8_S8_S8_S8_S8_EEEEZNS1_11reduce_implILb1ES3_PS9_SC_S9_12reduce_tupleIifEEE10hipError_tPvRmT1_T2_T3_mT4_P12ihipStream_tbEUlT_E0_NS1_11comp_targetILNS1_3genE9ELNS1_11target_archE1100ELNS1_3gpuE3ELNS1_3repE0EEENS1_30default_config_static_selectorELNS0_4arch9wavefront6targetE1EEEvSI_
	.p2align	8
	.type	_ZN7rocprim17ROCPRIM_400000_NS6detail17trampoline_kernelINS0_14default_configENS1_22reduce_config_selectorIN6thrust23THRUST_200600_302600_NS5tupleIbffNS6_9null_typeES8_S8_S8_S8_S8_S8_EEEEZNS1_11reduce_implILb1ES3_PS9_SC_S9_12reduce_tupleIifEEE10hipError_tPvRmT1_T2_T3_mT4_P12ihipStream_tbEUlT_E0_NS1_11comp_targetILNS1_3genE9ELNS1_11target_archE1100ELNS1_3gpuE3ELNS1_3repE0EEENS1_30default_config_static_selectorELNS0_4arch9wavefront6targetE1EEEvSI_,@function
_ZN7rocprim17ROCPRIM_400000_NS6detail17trampoline_kernelINS0_14default_configENS1_22reduce_config_selectorIN6thrust23THRUST_200600_302600_NS5tupleIbffNS6_9null_typeES8_S8_S8_S8_S8_S8_EEEEZNS1_11reduce_implILb1ES3_PS9_SC_S9_12reduce_tupleIifEEE10hipError_tPvRmT1_T2_T3_mT4_P12ihipStream_tbEUlT_E0_NS1_11comp_targetILNS1_3genE9ELNS1_11target_archE1100ELNS1_3gpuE3ELNS1_3repE0EEENS1_30default_config_static_selectorELNS0_4arch9wavefront6targetE1EEEvSI_: ; @_ZN7rocprim17ROCPRIM_400000_NS6detail17trampoline_kernelINS0_14default_configENS1_22reduce_config_selectorIN6thrust23THRUST_200600_302600_NS5tupleIbffNS6_9null_typeES8_S8_S8_S8_S8_S8_EEEEZNS1_11reduce_implILb1ES3_PS9_SC_S9_12reduce_tupleIifEEE10hipError_tPvRmT1_T2_T3_mT4_P12ihipStream_tbEUlT_E0_NS1_11comp_targetILNS1_3genE9ELNS1_11target_archE1100ELNS1_3gpuE3ELNS1_3repE0EEENS1_30default_config_static_selectorELNS0_4arch9wavefront6targetE1EEEvSI_
; %bb.0:
	.section	.rodata,"a",@progbits
	.p2align	6, 0x0
	.amdhsa_kernel _ZN7rocprim17ROCPRIM_400000_NS6detail17trampoline_kernelINS0_14default_configENS1_22reduce_config_selectorIN6thrust23THRUST_200600_302600_NS5tupleIbffNS6_9null_typeES8_S8_S8_S8_S8_S8_EEEEZNS1_11reduce_implILb1ES3_PS9_SC_S9_12reduce_tupleIifEEE10hipError_tPvRmT1_T2_T3_mT4_P12ihipStream_tbEUlT_E0_NS1_11comp_targetILNS1_3genE9ELNS1_11target_archE1100ELNS1_3gpuE3ELNS1_3repE0EEENS1_30default_config_static_selectorELNS0_4arch9wavefront6targetE1EEEvSI_
		.amdhsa_group_segment_fixed_size 0
		.amdhsa_private_segment_fixed_size 0
		.amdhsa_kernarg_size 64
		.amdhsa_user_sgpr_count 6
		.amdhsa_user_sgpr_private_segment_buffer 1
		.amdhsa_user_sgpr_dispatch_ptr 0
		.amdhsa_user_sgpr_queue_ptr 0
		.amdhsa_user_sgpr_kernarg_segment_ptr 1
		.amdhsa_user_sgpr_dispatch_id 0
		.amdhsa_user_sgpr_flat_scratch_init 0
		.amdhsa_user_sgpr_kernarg_preload_length 0
		.amdhsa_user_sgpr_kernarg_preload_offset 0
		.amdhsa_user_sgpr_private_segment_size 0
		.amdhsa_uses_dynamic_stack 0
		.amdhsa_system_sgpr_private_segment_wavefront_offset 0
		.amdhsa_system_sgpr_workgroup_id_x 1
		.amdhsa_system_sgpr_workgroup_id_y 0
		.amdhsa_system_sgpr_workgroup_id_z 0
		.amdhsa_system_sgpr_workgroup_info 0
		.amdhsa_system_vgpr_workitem_id 0
		.amdhsa_next_free_vgpr 1
		.amdhsa_next_free_sgpr 0
		.amdhsa_accum_offset 4
		.amdhsa_reserve_vcc 0
		.amdhsa_reserve_flat_scratch 0
		.amdhsa_float_round_mode_32 0
		.amdhsa_float_round_mode_16_64 0
		.amdhsa_float_denorm_mode_32 3
		.amdhsa_float_denorm_mode_16_64 3
		.amdhsa_dx10_clamp 1
		.amdhsa_ieee_mode 1
		.amdhsa_fp16_overflow 0
		.amdhsa_tg_split 0
		.amdhsa_exception_fp_ieee_invalid_op 0
		.amdhsa_exception_fp_denorm_src 0
		.amdhsa_exception_fp_ieee_div_zero 0
		.amdhsa_exception_fp_ieee_overflow 0
		.amdhsa_exception_fp_ieee_underflow 0
		.amdhsa_exception_fp_ieee_inexact 0
		.amdhsa_exception_int_div_zero 0
	.end_amdhsa_kernel
	.section	.text._ZN7rocprim17ROCPRIM_400000_NS6detail17trampoline_kernelINS0_14default_configENS1_22reduce_config_selectorIN6thrust23THRUST_200600_302600_NS5tupleIbffNS6_9null_typeES8_S8_S8_S8_S8_S8_EEEEZNS1_11reduce_implILb1ES3_PS9_SC_S9_12reduce_tupleIifEEE10hipError_tPvRmT1_T2_T3_mT4_P12ihipStream_tbEUlT_E0_NS1_11comp_targetILNS1_3genE9ELNS1_11target_archE1100ELNS1_3gpuE3ELNS1_3repE0EEENS1_30default_config_static_selectorELNS0_4arch9wavefront6targetE1EEEvSI_,"axG",@progbits,_ZN7rocprim17ROCPRIM_400000_NS6detail17trampoline_kernelINS0_14default_configENS1_22reduce_config_selectorIN6thrust23THRUST_200600_302600_NS5tupleIbffNS6_9null_typeES8_S8_S8_S8_S8_S8_EEEEZNS1_11reduce_implILb1ES3_PS9_SC_S9_12reduce_tupleIifEEE10hipError_tPvRmT1_T2_T3_mT4_P12ihipStream_tbEUlT_E0_NS1_11comp_targetILNS1_3genE9ELNS1_11target_archE1100ELNS1_3gpuE3ELNS1_3repE0EEENS1_30default_config_static_selectorELNS0_4arch9wavefront6targetE1EEEvSI_,comdat
.Lfunc_end8:
	.size	_ZN7rocprim17ROCPRIM_400000_NS6detail17trampoline_kernelINS0_14default_configENS1_22reduce_config_selectorIN6thrust23THRUST_200600_302600_NS5tupleIbffNS6_9null_typeES8_S8_S8_S8_S8_S8_EEEEZNS1_11reduce_implILb1ES3_PS9_SC_S9_12reduce_tupleIifEEE10hipError_tPvRmT1_T2_T3_mT4_P12ihipStream_tbEUlT_E0_NS1_11comp_targetILNS1_3genE9ELNS1_11target_archE1100ELNS1_3gpuE3ELNS1_3repE0EEENS1_30default_config_static_selectorELNS0_4arch9wavefront6targetE1EEEvSI_, .Lfunc_end8-_ZN7rocprim17ROCPRIM_400000_NS6detail17trampoline_kernelINS0_14default_configENS1_22reduce_config_selectorIN6thrust23THRUST_200600_302600_NS5tupleIbffNS6_9null_typeES8_S8_S8_S8_S8_S8_EEEEZNS1_11reduce_implILb1ES3_PS9_SC_S9_12reduce_tupleIifEEE10hipError_tPvRmT1_T2_T3_mT4_P12ihipStream_tbEUlT_E0_NS1_11comp_targetILNS1_3genE9ELNS1_11target_archE1100ELNS1_3gpuE3ELNS1_3repE0EEENS1_30default_config_static_selectorELNS0_4arch9wavefront6targetE1EEEvSI_
                                        ; -- End function
	.section	.AMDGPU.csdata,"",@progbits
; Kernel info:
; codeLenInByte = 0
; NumSgprs: 4
; NumVgprs: 0
; NumAgprs: 0
; TotalNumVgprs: 0
; ScratchSize: 0
; MemoryBound: 0
; FloatMode: 240
; IeeeMode: 1
; LDSByteSize: 0 bytes/workgroup (compile time only)
; SGPRBlocks: 0
; VGPRBlocks: 0
; NumSGPRsForWavesPerEU: 4
; NumVGPRsForWavesPerEU: 1
; AccumOffset: 4
; Occupancy: 8
; WaveLimiterHint : 0
; COMPUTE_PGM_RSRC2:SCRATCH_EN: 0
; COMPUTE_PGM_RSRC2:USER_SGPR: 6
; COMPUTE_PGM_RSRC2:TRAP_HANDLER: 0
; COMPUTE_PGM_RSRC2:TGID_X_EN: 1
; COMPUTE_PGM_RSRC2:TGID_Y_EN: 0
; COMPUTE_PGM_RSRC2:TGID_Z_EN: 0
; COMPUTE_PGM_RSRC2:TIDIG_COMP_CNT: 0
; COMPUTE_PGM_RSRC3_GFX90A:ACCUM_OFFSET: 0
; COMPUTE_PGM_RSRC3_GFX90A:TG_SPLIT: 0
	.section	.text._ZN7rocprim17ROCPRIM_400000_NS6detail17trampoline_kernelINS0_14default_configENS1_22reduce_config_selectorIN6thrust23THRUST_200600_302600_NS5tupleIbffNS6_9null_typeES8_S8_S8_S8_S8_S8_EEEEZNS1_11reduce_implILb1ES3_PS9_SC_S9_12reduce_tupleIifEEE10hipError_tPvRmT1_T2_T3_mT4_P12ihipStream_tbEUlT_E0_NS1_11comp_targetILNS1_3genE8ELNS1_11target_archE1030ELNS1_3gpuE2ELNS1_3repE0EEENS1_30default_config_static_selectorELNS0_4arch9wavefront6targetE1EEEvSI_,"axG",@progbits,_ZN7rocprim17ROCPRIM_400000_NS6detail17trampoline_kernelINS0_14default_configENS1_22reduce_config_selectorIN6thrust23THRUST_200600_302600_NS5tupleIbffNS6_9null_typeES8_S8_S8_S8_S8_S8_EEEEZNS1_11reduce_implILb1ES3_PS9_SC_S9_12reduce_tupleIifEEE10hipError_tPvRmT1_T2_T3_mT4_P12ihipStream_tbEUlT_E0_NS1_11comp_targetILNS1_3genE8ELNS1_11target_archE1030ELNS1_3gpuE2ELNS1_3repE0EEENS1_30default_config_static_selectorELNS0_4arch9wavefront6targetE1EEEvSI_,comdat
	.protected	_ZN7rocprim17ROCPRIM_400000_NS6detail17trampoline_kernelINS0_14default_configENS1_22reduce_config_selectorIN6thrust23THRUST_200600_302600_NS5tupleIbffNS6_9null_typeES8_S8_S8_S8_S8_S8_EEEEZNS1_11reduce_implILb1ES3_PS9_SC_S9_12reduce_tupleIifEEE10hipError_tPvRmT1_T2_T3_mT4_P12ihipStream_tbEUlT_E0_NS1_11comp_targetILNS1_3genE8ELNS1_11target_archE1030ELNS1_3gpuE2ELNS1_3repE0EEENS1_30default_config_static_selectorELNS0_4arch9wavefront6targetE1EEEvSI_ ; -- Begin function _ZN7rocprim17ROCPRIM_400000_NS6detail17trampoline_kernelINS0_14default_configENS1_22reduce_config_selectorIN6thrust23THRUST_200600_302600_NS5tupleIbffNS6_9null_typeES8_S8_S8_S8_S8_S8_EEEEZNS1_11reduce_implILb1ES3_PS9_SC_S9_12reduce_tupleIifEEE10hipError_tPvRmT1_T2_T3_mT4_P12ihipStream_tbEUlT_E0_NS1_11comp_targetILNS1_3genE8ELNS1_11target_archE1030ELNS1_3gpuE2ELNS1_3repE0EEENS1_30default_config_static_selectorELNS0_4arch9wavefront6targetE1EEEvSI_
	.globl	_ZN7rocprim17ROCPRIM_400000_NS6detail17trampoline_kernelINS0_14default_configENS1_22reduce_config_selectorIN6thrust23THRUST_200600_302600_NS5tupleIbffNS6_9null_typeES8_S8_S8_S8_S8_S8_EEEEZNS1_11reduce_implILb1ES3_PS9_SC_S9_12reduce_tupleIifEEE10hipError_tPvRmT1_T2_T3_mT4_P12ihipStream_tbEUlT_E0_NS1_11comp_targetILNS1_3genE8ELNS1_11target_archE1030ELNS1_3gpuE2ELNS1_3repE0EEENS1_30default_config_static_selectorELNS0_4arch9wavefront6targetE1EEEvSI_
	.p2align	8
	.type	_ZN7rocprim17ROCPRIM_400000_NS6detail17trampoline_kernelINS0_14default_configENS1_22reduce_config_selectorIN6thrust23THRUST_200600_302600_NS5tupleIbffNS6_9null_typeES8_S8_S8_S8_S8_S8_EEEEZNS1_11reduce_implILb1ES3_PS9_SC_S9_12reduce_tupleIifEEE10hipError_tPvRmT1_T2_T3_mT4_P12ihipStream_tbEUlT_E0_NS1_11comp_targetILNS1_3genE8ELNS1_11target_archE1030ELNS1_3gpuE2ELNS1_3repE0EEENS1_30default_config_static_selectorELNS0_4arch9wavefront6targetE1EEEvSI_,@function
_ZN7rocprim17ROCPRIM_400000_NS6detail17trampoline_kernelINS0_14default_configENS1_22reduce_config_selectorIN6thrust23THRUST_200600_302600_NS5tupleIbffNS6_9null_typeES8_S8_S8_S8_S8_S8_EEEEZNS1_11reduce_implILb1ES3_PS9_SC_S9_12reduce_tupleIifEEE10hipError_tPvRmT1_T2_T3_mT4_P12ihipStream_tbEUlT_E0_NS1_11comp_targetILNS1_3genE8ELNS1_11target_archE1030ELNS1_3gpuE2ELNS1_3repE0EEENS1_30default_config_static_selectorELNS0_4arch9wavefront6targetE1EEEvSI_: ; @_ZN7rocprim17ROCPRIM_400000_NS6detail17trampoline_kernelINS0_14default_configENS1_22reduce_config_selectorIN6thrust23THRUST_200600_302600_NS5tupleIbffNS6_9null_typeES8_S8_S8_S8_S8_S8_EEEEZNS1_11reduce_implILb1ES3_PS9_SC_S9_12reduce_tupleIifEEE10hipError_tPvRmT1_T2_T3_mT4_P12ihipStream_tbEUlT_E0_NS1_11comp_targetILNS1_3genE8ELNS1_11target_archE1030ELNS1_3gpuE2ELNS1_3repE0EEENS1_30default_config_static_selectorELNS0_4arch9wavefront6targetE1EEEvSI_
; %bb.0:
	.section	.rodata,"a",@progbits
	.p2align	6, 0x0
	.amdhsa_kernel _ZN7rocprim17ROCPRIM_400000_NS6detail17trampoline_kernelINS0_14default_configENS1_22reduce_config_selectorIN6thrust23THRUST_200600_302600_NS5tupleIbffNS6_9null_typeES8_S8_S8_S8_S8_S8_EEEEZNS1_11reduce_implILb1ES3_PS9_SC_S9_12reduce_tupleIifEEE10hipError_tPvRmT1_T2_T3_mT4_P12ihipStream_tbEUlT_E0_NS1_11comp_targetILNS1_3genE8ELNS1_11target_archE1030ELNS1_3gpuE2ELNS1_3repE0EEENS1_30default_config_static_selectorELNS0_4arch9wavefront6targetE1EEEvSI_
		.amdhsa_group_segment_fixed_size 0
		.amdhsa_private_segment_fixed_size 0
		.amdhsa_kernarg_size 64
		.amdhsa_user_sgpr_count 6
		.amdhsa_user_sgpr_private_segment_buffer 1
		.amdhsa_user_sgpr_dispatch_ptr 0
		.amdhsa_user_sgpr_queue_ptr 0
		.amdhsa_user_sgpr_kernarg_segment_ptr 1
		.amdhsa_user_sgpr_dispatch_id 0
		.amdhsa_user_sgpr_flat_scratch_init 0
		.amdhsa_user_sgpr_kernarg_preload_length 0
		.amdhsa_user_sgpr_kernarg_preload_offset 0
		.amdhsa_user_sgpr_private_segment_size 0
		.amdhsa_uses_dynamic_stack 0
		.amdhsa_system_sgpr_private_segment_wavefront_offset 0
		.amdhsa_system_sgpr_workgroup_id_x 1
		.amdhsa_system_sgpr_workgroup_id_y 0
		.amdhsa_system_sgpr_workgroup_id_z 0
		.amdhsa_system_sgpr_workgroup_info 0
		.amdhsa_system_vgpr_workitem_id 0
		.amdhsa_next_free_vgpr 1
		.amdhsa_next_free_sgpr 0
		.amdhsa_accum_offset 4
		.amdhsa_reserve_vcc 0
		.amdhsa_reserve_flat_scratch 0
		.amdhsa_float_round_mode_32 0
		.amdhsa_float_round_mode_16_64 0
		.amdhsa_float_denorm_mode_32 3
		.amdhsa_float_denorm_mode_16_64 3
		.amdhsa_dx10_clamp 1
		.amdhsa_ieee_mode 1
		.amdhsa_fp16_overflow 0
		.amdhsa_tg_split 0
		.amdhsa_exception_fp_ieee_invalid_op 0
		.amdhsa_exception_fp_denorm_src 0
		.amdhsa_exception_fp_ieee_div_zero 0
		.amdhsa_exception_fp_ieee_overflow 0
		.amdhsa_exception_fp_ieee_underflow 0
		.amdhsa_exception_fp_ieee_inexact 0
		.amdhsa_exception_int_div_zero 0
	.end_amdhsa_kernel
	.section	.text._ZN7rocprim17ROCPRIM_400000_NS6detail17trampoline_kernelINS0_14default_configENS1_22reduce_config_selectorIN6thrust23THRUST_200600_302600_NS5tupleIbffNS6_9null_typeES8_S8_S8_S8_S8_S8_EEEEZNS1_11reduce_implILb1ES3_PS9_SC_S9_12reduce_tupleIifEEE10hipError_tPvRmT1_T2_T3_mT4_P12ihipStream_tbEUlT_E0_NS1_11comp_targetILNS1_3genE8ELNS1_11target_archE1030ELNS1_3gpuE2ELNS1_3repE0EEENS1_30default_config_static_selectorELNS0_4arch9wavefront6targetE1EEEvSI_,"axG",@progbits,_ZN7rocprim17ROCPRIM_400000_NS6detail17trampoline_kernelINS0_14default_configENS1_22reduce_config_selectorIN6thrust23THRUST_200600_302600_NS5tupleIbffNS6_9null_typeES8_S8_S8_S8_S8_S8_EEEEZNS1_11reduce_implILb1ES3_PS9_SC_S9_12reduce_tupleIifEEE10hipError_tPvRmT1_T2_T3_mT4_P12ihipStream_tbEUlT_E0_NS1_11comp_targetILNS1_3genE8ELNS1_11target_archE1030ELNS1_3gpuE2ELNS1_3repE0EEENS1_30default_config_static_selectorELNS0_4arch9wavefront6targetE1EEEvSI_,comdat
.Lfunc_end9:
	.size	_ZN7rocprim17ROCPRIM_400000_NS6detail17trampoline_kernelINS0_14default_configENS1_22reduce_config_selectorIN6thrust23THRUST_200600_302600_NS5tupleIbffNS6_9null_typeES8_S8_S8_S8_S8_S8_EEEEZNS1_11reduce_implILb1ES3_PS9_SC_S9_12reduce_tupleIifEEE10hipError_tPvRmT1_T2_T3_mT4_P12ihipStream_tbEUlT_E0_NS1_11comp_targetILNS1_3genE8ELNS1_11target_archE1030ELNS1_3gpuE2ELNS1_3repE0EEENS1_30default_config_static_selectorELNS0_4arch9wavefront6targetE1EEEvSI_, .Lfunc_end9-_ZN7rocprim17ROCPRIM_400000_NS6detail17trampoline_kernelINS0_14default_configENS1_22reduce_config_selectorIN6thrust23THRUST_200600_302600_NS5tupleIbffNS6_9null_typeES8_S8_S8_S8_S8_S8_EEEEZNS1_11reduce_implILb1ES3_PS9_SC_S9_12reduce_tupleIifEEE10hipError_tPvRmT1_T2_T3_mT4_P12ihipStream_tbEUlT_E0_NS1_11comp_targetILNS1_3genE8ELNS1_11target_archE1030ELNS1_3gpuE2ELNS1_3repE0EEENS1_30default_config_static_selectorELNS0_4arch9wavefront6targetE1EEEvSI_
                                        ; -- End function
	.section	.AMDGPU.csdata,"",@progbits
; Kernel info:
; codeLenInByte = 0
; NumSgprs: 4
; NumVgprs: 0
; NumAgprs: 0
; TotalNumVgprs: 0
; ScratchSize: 0
; MemoryBound: 0
; FloatMode: 240
; IeeeMode: 1
; LDSByteSize: 0 bytes/workgroup (compile time only)
; SGPRBlocks: 0
; VGPRBlocks: 0
; NumSGPRsForWavesPerEU: 4
; NumVGPRsForWavesPerEU: 1
; AccumOffset: 4
; Occupancy: 8
; WaveLimiterHint : 0
; COMPUTE_PGM_RSRC2:SCRATCH_EN: 0
; COMPUTE_PGM_RSRC2:USER_SGPR: 6
; COMPUTE_PGM_RSRC2:TRAP_HANDLER: 0
; COMPUTE_PGM_RSRC2:TGID_X_EN: 1
; COMPUTE_PGM_RSRC2:TGID_Y_EN: 0
; COMPUTE_PGM_RSRC2:TGID_Z_EN: 0
; COMPUTE_PGM_RSRC2:TIDIG_COMP_CNT: 0
; COMPUTE_PGM_RSRC3_GFX90A:ACCUM_OFFSET: 0
; COMPUTE_PGM_RSRC3_GFX90A:TG_SPLIT: 0
	.section	.text._ZN7rocprim17ROCPRIM_400000_NS6detail17trampoline_kernelINS0_14default_configENS1_22reduce_config_selectorIN6thrust23THRUST_200600_302600_NS5tupleIbffNS6_9null_typeES8_S8_S8_S8_S8_S8_EEEEZNS1_11reduce_implILb1ES3_PS9_SC_S9_12reduce_tupleIifEEE10hipError_tPvRmT1_T2_T3_mT4_P12ihipStream_tbEUlT_E1_NS1_11comp_targetILNS1_3genE0ELNS1_11target_archE4294967295ELNS1_3gpuE0ELNS1_3repE0EEENS1_30default_config_static_selectorELNS0_4arch9wavefront6targetE1EEEvSI_,"axG",@progbits,_ZN7rocprim17ROCPRIM_400000_NS6detail17trampoline_kernelINS0_14default_configENS1_22reduce_config_selectorIN6thrust23THRUST_200600_302600_NS5tupleIbffNS6_9null_typeES8_S8_S8_S8_S8_S8_EEEEZNS1_11reduce_implILb1ES3_PS9_SC_S9_12reduce_tupleIifEEE10hipError_tPvRmT1_T2_T3_mT4_P12ihipStream_tbEUlT_E1_NS1_11comp_targetILNS1_3genE0ELNS1_11target_archE4294967295ELNS1_3gpuE0ELNS1_3repE0EEENS1_30default_config_static_selectorELNS0_4arch9wavefront6targetE1EEEvSI_,comdat
	.protected	_ZN7rocprim17ROCPRIM_400000_NS6detail17trampoline_kernelINS0_14default_configENS1_22reduce_config_selectorIN6thrust23THRUST_200600_302600_NS5tupleIbffNS6_9null_typeES8_S8_S8_S8_S8_S8_EEEEZNS1_11reduce_implILb1ES3_PS9_SC_S9_12reduce_tupleIifEEE10hipError_tPvRmT1_T2_T3_mT4_P12ihipStream_tbEUlT_E1_NS1_11comp_targetILNS1_3genE0ELNS1_11target_archE4294967295ELNS1_3gpuE0ELNS1_3repE0EEENS1_30default_config_static_selectorELNS0_4arch9wavefront6targetE1EEEvSI_ ; -- Begin function _ZN7rocprim17ROCPRIM_400000_NS6detail17trampoline_kernelINS0_14default_configENS1_22reduce_config_selectorIN6thrust23THRUST_200600_302600_NS5tupleIbffNS6_9null_typeES8_S8_S8_S8_S8_S8_EEEEZNS1_11reduce_implILb1ES3_PS9_SC_S9_12reduce_tupleIifEEE10hipError_tPvRmT1_T2_T3_mT4_P12ihipStream_tbEUlT_E1_NS1_11comp_targetILNS1_3genE0ELNS1_11target_archE4294967295ELNS1_3gpuE0ELNS1_3repE0EEENS1_30default_config_static_selectorELNS0_4arch9wavefront6targetE1EEEvSI_
	.globl	_ZN7rocprim17ROCPRIM_400000_NS6detail17trampoline_kernelINS0_14default_configENS1_22reduce_config_selectorIN6thrust23THRUST_200600_302600_NS5tupleIbffNS6_9null_typeES8_S8_S8_S8_S8_S8_EEEEZNS1_11reduce_implILb1ES3_PS9_SC_S9_12reduce_tupleIifEEE10hipError_tPvRmT1_T2_T3_mT4_P12ihipStream_tbEUlT_E1_NS1_11comp_targetILNS1_3genE0ELNS1_11target_archE4294967295ELNS1_3gpuE0ELNS1_3repE0EEENS1_30default_config_static_selectorELNS0_4arch9wavefront6targetE1EEEvSI_
	.p2align	8
	.type	_ZN7rocprim17ROCPRIM_400000_NS6detail17trampoline_kernelINS0_14default_configENS1_22reduce_config_selectorIN6thrust23THRUST_200600_302600_NS5tupleIbffNS6_9null_typeES8_S8_S8_S8_S8_S8_EEEEZNS1_11reduce_implILb1ES3_PS9_SC_S9_12reduce_tupleIifEEE10hipError_tPvRmT1_T2_T3_mT4_P12ihipStream_tbEUlT_E1_NS1_11comp_targetILNS1_3genE0ELNS1_11target_archE4294967295ELNS1_3gpuE0ELNS1_3repE0EEENS1_30default_config_static_selectorELNS0_4arch9wavefront6targetE1EEEvSI_,@function
_ZN7rocprim17ROCPRIM_400000_NS6detail17trampoline_kernelINS0_14default_configENS1_22reduce_config_selectorIN6thrust23THRUST_200600_302600_NS5tupleIbffNS6_9null_typeES8_S8_S8_S8_S8_S8_EEEEZNS1_11reduce_implILb1ES3_PS9_SC_S9_12reduce_tupleIifEEE10hipError_tPvRmT1_T2_T3_mT4_P12ihipStream_tbEUlT_E1_NS1_11comp_targetILNS1_3genE0ELNS1_11target_archE4294967295ELNS1_3gpuE0ELNS1_3repE0EEENS1_30default_config_static_selectorELNS0_4arch9wavefront6targetE1EEEvSI_: ; @_ZN7rocprim17ROCPRIM_400000_NS6detail17trampoline_kernelINS0_14default_configENS1_22reduce_config_selectorIN6thrust23THRUST_200600_302600_NS5tupleIbffNS6_9null_typeES8_S8_S8_S8_S8_S8_EEEEZNS1_11reduce_implILb1ES3_PS9_SC_S9_12reduce_tupleIifEEE10hipError_tPvRmT1_T2_T3_mT4_P12ihipStream_tbEUlT_E1_NS1_11comp_targetILNS1_3genE0ELNS1_11target_archE4294967295ELNS1_3gpuE0ELNS1_3repE0EEENS1_30default_config_static_selectorELNS0_4arch9wavefront6targetE1EEEvSI_
; %bb.0:
	.section	.rodata,"a",@progbits
	.p2align	6, 0x0
	.amdhsa_kernel _ZN7rocprim17ROCPRIM_400000_NS6detail17trampoline_kernelINS0_14default_configENS1_22reduce_config_selectorIN6thrust23THRUST_200600_302600_NS5tupleIbffNS6_9null_typeES8_S8_S8_S8_S8_S8_EEEEZNS1_11reduce_implILb1ES3_PS9_SC_S9_12reduce_tupleIifEEE10hipError_tPvRmT1_T2_T3_mT4_P12ihipStream_tbEUlT_E1_NS1_11comp_targetILNS1_3genE0ELNS1_11target_archE4294967295ELNS1_3gpuE0ELNS1_3repE0EEENS1_30default_config_static_selectorELNS0_4arch9wavefront6targetE1EEEvSI_
		.amdhsa_group_segment_fixed_size 0
		.amdhsa_private_segment_fixed_size 0
		.amdhsa_kernarg_size 48
		.amdhsa_user_sgpr_count 6
		.amdhsa_user_sgpr_private_segment_buffer 1
		.amdhsa_user_sgpr_dispatch_ptr 0
		.amdhsa_user_sgpr_queue_ptr 0
		.amdhsa_user_sgpr_kernarg_segment_ptr 1
		.amdhsa_user_sgpr_dispatch_id 0
		.amdhsa_user_sgpr_flat_scratch_init 0
		.amdhsa_user_sgpr_kernarg_preload_length 0
		.amdhsa_user_sgpr_kernarg_preload_offset 0
		.amdhsa_user_sgpr_private_segment_size 0
		.amdhsa_uses_dynamic_stack 0
		.amdhsa_system_sgpr_private_segment_wavefront_offset 0
		.amdhsa_system_sgpr_workgroup_id_x 1
		.amdhsa_system_sgpr_workgroup_id_y 0
		.amdhsa_system_sgpr_workgroup_id_z 0
		.amdhsa_system_sgpr_workgroup_info 0
		.amdhsa_system_vgpr_workitem_id 0
		.amdhsa_next_free_vgpr 1
		.amdhsa_next_free_sgpr 0
		.amdhsa_accum_offset 4
		.amdhsa_reserve_vcc 0
		.amdhsa_reserve_flat_scratch 0
		.amdhsa_float_round_mode_32 0
		.amdhsa_float_round_mode_16_64 0
		.amdhsa_float_denorm_mode_32 3
		.amdhsa_float_denorm_mode_16_64 3
		.amdhsa_dx10_clamp 1
		.amdhsa_ieee_mode 1
		.amdhsa_fp16_overflow 0
		.amdhsa_tg_split 0
		.amdhsa_exception_fp_ieee_invalid_op 0
		.amdhsa_exception_fp_denorm_src 0
		.amdhsa_exception_fp_ieee_div_zero 0
		.amdhsa_exception_fp_ieee_overflow 0
		.amdhsa_exception_fp_ieee_underflow 0
		.amdhsa_exception_fp_ieee_inexact 0
		.amdhsa_exception_int_div_zero 0
	.end_amdhsa_kernel
	.section	.text._ZN7rocprim17ROCPRIM_400000_NS6detail17trampoline_kernelINS0_14default_configENS1_22reduce_config_selectorIN6thrust23THRUST_200600_302600_NS5tupleIbffNS6_9null_typeES8_S8_S8_S8_S8_S8_EEEEZNS1_11reduce_implILb1ES3_PS9_SC_S9_12reduce_tupleIifEEE10hipError_tPvRmT1_T2_T3_mT4_P12ihipStream_tbEUlT_E1_NS1_11comp_targetILNS1_3genE0ELNS1_11target_archE4294967295ELNS1_3gpuE0ELNS1_3repE0EEENS1_30default_config_static_selectorELNS0_4arch9wavefront6targetE1EEEvSI_,"axG",@progbits,_ZN7rocprim17ROCPRIM_400000_NS6detail17trampoline_kernelINS0_14default_configENS1_22reduce_config_selectorIN6thrust23THRUST_200600_302600_NS5tupleIbffNS6_9null_typeES8_S8_S8_S8_S8_S8_EEEEZNS1_11reduce_implILb1ES3_PS9_SC_S9_12reduce_tupleIifEEE10hipError_tPvRmT1_T2_T3_mT4_P12ihipStream_tbEUlT_E1_NS1_11comp_targetILNS1_3genE0ELNS1_11target_archE4294967295ELNS1_3gpuE0ELNS1_3repE0EEENS1_30default_config_static_selectorELNS0_4arch9wavefront6targetE1EEEvSI_,comdat
.Lfunc_end10:
	.size	_ZN7rocprim17ROCPRIM_400000_NS6detail17trampoline_kernelINS0_14default_configENS1_22reduce_config_selectorIN6thrust23THRUST_200600_302600_NS5tupleIbffNS6_9null_typeES8_S8_S8_S8_S8_S8_EEEEZNS1_11reduce_implILb1ES3_PS9_SC_S9_12reduce_tupleIifEEE10hipError_tPvRmT1_T2_T3_mT4_P12ihipStream_tbEUlT_E1_NS1_11comp_targetILNS1_3genE0ELNS1_11target_archE4294967295ELNS1_3gpuE0ELNS1_3repE0EEENS1_30default_config_static_selectorELNS0_4arch9wavefront6targetE1EEEvSI_, .Lfunc_end10-_ZN7rocprim17ROCPRIM_400000_NS6detail17trampoline_kernelINS0_14default_configENS1_22reduce_config_selectorIN6thrust23THRUST_200600_302600_NS5tupleIbffNS6_9null_typeES8_S8_S8_S8_S8_S8_EEEEZNS1_11reduce_implILb1ES3_PS9_SC_S9_12reduce_tupleIifEEE10hipError_tPvRmT1_T2_T3_mT4_P12ihipStream_tbEUlT_E1_NS1_11comp_targetILNS1_3genE0ELNS1_11target_archE4294967295ELNS1_3gpuE0ELNS1_3repE0EEENS1_30default_config_static_selectorELNS0_4arch9wavefront6targetE1EEEvSI_
                                        ; -- End function
	.section	.AMDGPU.csdata,"",@progbits
; Kernel info:
; codeLenInByte = 0
; NumSgprs: 4
; NumVgprs: 0
; NumAgprs: 0
; TotalNumVgprs: 0
; ScratchSize: 0
; MemoryBound: 0
; FloatMode: 240
; IeeeMode: 1
; LDSByteSize: 0 bytes/workgroup (compile time only)
; SGPRBlocks: 0
; VGPRBlocks: 0
; NumSGPRsForWavesPerEU: 4
; NumVGPRsForWavesPerEU: 1
; AccumOffset: 4
; Occupancy: 8
; WaveLimiterHint : 0
; COMPUTE_PGM_RSRC2:SCRATCH_EN: 0
; COMPUTE_PGM_RSRC2:USER_SGPR: 6
; COMPUTE_PGM_RSRC2:TRAP_HANDLER: 0
; COMPUTE_PGM_RSRC2:TGID_X_EN: 1
; COMPUTE_PGM_RSRC2:TGID_Y_EN: 0
; COMPUTE_PGM_RSRC2:TGID_Z_EN: 0
; COMPUTE_PGM_RSRC2:TIDIG_COMP_CNT: 0
; COMPUTE_PGM_RSRC3_GFX90A:ACCUM_OFFSET: 0
; COMPUTE_PGM_RSRC3_GFX90A:TG_SPLIT: 0
	.section	.text._ZN7rocprim17ROCPRIM_400000_NS6detail17trampoline_kernelINS0_14default_configENS1_22reduce_config_selectorIN6thrust23THRUST_200600_302600_NS5tupleIbffNS6_9null_typeES8_S8_S8_S8_S8_S8_EEEEZNS1_11reduce_implILb1ES3_PS9_SC_S9_12reduce_tupleIifEEE10hipError_tPvRmT1_T2_T3_mT4_P12ihipStream_tbEUlT_E1_NS1_11comp_targetILNS1_3genE5ELNS1_11target_archE942ELNS1_3gpuE9ELNS1_3repE0EEENS1_30default_config_static_selectorELNS0_4arch9wavefront6targetE1EEEvSI_,"axG",@progbits,_ZN7rocprim17ROCPRIM_400000_NS6detail17trampoline_kernelINS0_14default_configENS1_22reduce_config_selectorIN6thrust23THRUST_200600_302600_NS5tupleIbffNS6_9null_typeES8_S8_S8_S8_S8_S8_EEEEZNS1_11reduce_implILb1ES3_PS9_SC_S9_12reduce_tupleIifEEE10hipError_tPvRmT1_T2_T3_mT4_P12ihipStream_tbEUlT_E1_NS1_11comp_targetILNS1_3genE5ELNS1_11target_archE942ELNS1_3gpuE9ELNS1_3repE0EEENS1_30default_config_static_selectorELNS0_4arch9wavefront6targetE1EEEvSI_,comdat
	.protected	_ZN7rocprim17ROCPRIM_400000_NS6detail17trampoline_kernelINS0_14default_configENS1_22reduce_config_selectorIN6thrust23THRUST_200600_302600_NS5tupleIbffNS6_9null_typeES8_S8_S8_S8_S8_S8_EEEEZNS1_11reduce_implILb1ES3_PS9_SC_S9_12reduce_tupleIifEEE10hipError_tPvRmT1_T2_T3_mT4_P12ihipStream_tbEUlT_E1_NS1_11comp_targetILNS1_3genE5ELNS1_11target_archE942ELNS1_3gpuE9ELNS1_3repE0EEENS1_30default_config_static_selectorELNS0_4arch9wavefront6targetE1EEEvSI_ ; -- Begin function _ZN7rocprim17ROCPRIM_400000_NS6detail17trampoline_kernelINS0_14default_configENS1_22reduce_config_selectorIN6thrust23THRUST_200600_302600_NS5tupleIbffNS6_9null_typeES8_S8_S8_S8_S8_S8_EEEEZNS1_11reduce_implILb1ES3_PS9_SC_S9_12reduce_tupleIifEEE10hipError_tPvRmT1_T2_T3_mT4_P12ihipStream_tbEUlT_E1_NS1_11comp_targetILNS1_3genE5ELNS1_11target_archE942ELNS1_3gpuE9ELNS1_3repE0EEENS1_30default_config_static_selectorELNS0_4arch9wavefront6targetE1EEEvSI_
	.globl	_ZN7rocprim17ROCPRIM_400000_NS6detail17trampoline_kernelINS0_14default_configENS1_22reduce_config_selectorIN6thrust23THRUST_200600_302600_NS5tupleIbffNS6_9null_typeES8_S8_S8_S8_S8_S8_EEEEZNS1_11reduce_implILb1ES3_PS9_SC_S9_12reduce_tupleIifEEE10hipError_tPvRmT1_T2_T3_mT4_P12ihipStream_tbEUlT_E1_NS1_11comp_targetILNS1_3genE5ELNS1_11target_archE942ELNS1_3gpuE9ELNS1_3repE0EEENS1_30default_config_static_selectorELNS0_4arch9wavefront6targetE1EEEvSI_
	.p2align	8
	.type	_ZN7rocprim17ROCPRIM_400000_NS6detail17trampoline_kernelINS0_14default_configENS1_22reduce_config_selectorIN6thrust23THRUST_200600_302600_NS5tupleIbffNS6_9null_typeES8_S8_S8_S8_S8_S8_EEEEZNS1_11reduce_implILb1ES3_PS9_SC_S9_12reduce_tupleIifEEE10hipError_tPvRmT1_T2_T3_mT4_P12ihipStream_tbEUlT_E1_NS1_11comp_targetILNS1_3genE5ELNS1_11target_archE942ELNS1_3gpuE9ELNS1_3repE0EEENS1_30default_config_static_selectorELNS0_4arch9wavefront6targetE1EEEvSI_,@function
_ZN7rocprim17ROCPRIM_400000_NS6detail17trampoline_kernelINS0_14default_configENS1_22reduce_config_selectorIN6thrust23THRUST_200600_302600_NS5tupleIbffNS6_9null_typeES8_S8_S8_S8_S8_S8_EEEEZNS1_11reduce_implILb1ES3_PS9_SC_S9_12reduce_tupleIifEEE10hipError_tPvRmT1_T2_T3_mT4_P12ihipStream_tbEUlT_E1_NS1_11comp_targetILNS1_3genE5ELNS1_11target_archE942ELNS1_3gpuE9ELNS1_3repE0EEENS1_30default_config_static_selectorELNS0_4arch9wavefront6targetE1EEEvSI_: ; @_ZN7rocprim17ROCPRIM_400000_NS6detail17trampoline_kernelINS0_14default_configENS1_22reduce_config_selectorIN6thrust23THRUST_200600_302600_NS5tupleIbffNS6_9null_typeES8_S8_S8_S8_S8_S8_EEEEZNS1_11reduce_implILb1ES3_PS9_SC_S9_12reduce_tupleIifEEE10hipError_tPvRmT1_T2_T3_mT4_P12ihipStream_tbEUlT_E1_NS1_11comp_targetILNS1_3genE5ELNS1_11target_archE942ELNS1_3gpuE9ELNS1_3repE0EEENS1_30default_config_static_selectorELNS0_4arch9wavefront6targetE1EEEvSI_
; %bb.0:
	.section	.rodata,"a",@progbits
	.p2align	6, 0x0
	.amdhsa_kernel _ZN7rocprim17ROCPRIM_400000_NS6detail17trampoline_kernelINS0_14default_configENS1_22reduce_config_selectorIN6thrust23THRUST_200600_302600_NS5tupleIbffNS6_9null_typeES8_S8_S8_S8_S8_S8_EEEEZNS1_11reduce_implILb1ES3_PS9_SC_S9_12reduce_tupleIifEEE10hipError_tPvRmT1_T2_T3_mT4_P12ihipStream_tbEUlT_E1_NS1_11comp_targetILNS1_3genE5ELNS1_11target_archE942ELNS1_3gpuE9ELNS1_3repE0EEENS1_30default_config_static_selectorELNS0_4arch9wavefront6targetE1EEEvSI_
		.amdhsa_group_segment_fixed_size 0
		.amdhsa_private_segment_fixed_size 0
		.amdhsa_kernarg_size 48
		.amdhsa_user_sgpr_count 6
		.amdhsa_user_sgpr_private_segment_buffer 1
		.amdhsa_user_sgpr_dispatch_ptr 0
		.amdhsa_user_sgpr_queue_ptr 0
		.amdhsa_user_sgpr_kernarg_segment_ptr 1
		.amdhsa_user_sgpr_dispatch_id 0
		.amdhsa_user_sgpr_flat_scratch_init 0
		.amdhsa_user_sgpr_kernarg_preload_length 0
		.amdhsa_user_sgpr_kernarg_preload_offset 0
		.amdhsa_user_sgpr_private_segment_size 0
		.amdhsa_uses_dynamic_stack 0
		.amdhsa_system_sgpr_private_segment_wavefront_offset 0
		.amdhsa_system_sgpr_workgroup_id_x 1
		.amdhsa_system_sgpr_workgroup_id_y 0
		.amdhsa_system_sgpr_workgroup_id_z 0
		.amdhsa_system_sgpr_workgroup_info 0
		.amdhsa_system_vgpr_workitem_id 0
		.amdhsa_next_free_vgpr 1
		.amdhsa_next_free_sgpr 0
		.amdhsa_accum_offset 4
		.amdhsa_reserve_vcc 0
		.amdhsa_reserve_flat_scratch 0
		.amdhsa_float_round_mode_32 0
		.amdhsa_float_round_mode_16_64 0
		.amdhsa_float_denorm_mode_32 3
		.amdhsa_float_denorm_mode_16_64 3
		.amdhsa_dx10_clamp 1
		.amdhsa_ieee_mode 1
		.amdhsa_fp16_overflow 0
		.amdhsa_tg_split 0
		.amdhsa_exception_fp_ieee_invalid_op 0
		.amdhsa_exception_fp_denorm_src 0
		.amdhsa_exception_fp_ieee_div_zero 0
		.amdhsa_exception_fp_ieee_overflow 0
		.amdhsa_exception_fp_ieee_underflow 0
		.amdhsa_exception_fp_ieee_inexact 0
		.amdhsa_exception_int_div_zero 0
	.end_amdhsa_kernel
	.section	.text._ZN7rocprim17ROCPRIM_400000_NS6detail17trampoline_kernelINS0_14default_configENS1_22reduce_config_selectorIN6thrust23THRUST_200600_302600_NS5tupleIbffNS6_9null_typeES8_S8_S8_S8_S8_S8_EEEEZNS1_11reduce_implILb1ES3_PS9_SC_S9_12reduce_tupleIifEEE10hipError_tPvRmT1_T2_T3_mT4_P12ihipStream_tbEUlT_E1_NS1_11comp_targetILNS1_3genE5ELNS1_11target_archE942ELNS1_3gpuE9ELNS1_3repE0EEENS1_30default_config_static_selectorELNS0_4arch9wavefront6targetE1EEEvSI_,"axG",@progbits,_ZN7rocprim17ROCPRIM_400000_NS6detail17trampoline_kernelINS0_14default_configENS1_22reduce_config_selectorIN6thrust23THRUST_200600_302600_NS5tupleIbffNS6_9null_typeES8_S8_S8_S8_S8_S8_EEEEZNS1_11reduce_implILb1ES3_PS9_SC_S9_12reduce_tupleIifEEE10hipError_tPvRmT1_T2_T3_mT4_P12ihipStream_tbEUlT_E1_NS1_11comp_targetILNS1_3genE5ELNS1_11target_archE942ELNS1_3gpuE9ELNS1_3repE0EEENS1_30default_config_static_selectorELNS0_4arch9wavefront6targetE1EEEvSI_,comdat
.Lfunc_end11:
	.size	_ZN7rocprim17ROCPRIM_400000_NS6detail17trampoline_kernelINS0_14default_configENS1_22reduce_config_selectorIN6thrust23THRUST_200600_302600_NS5tupleIbffNS6_9null_typeES8_S8_S8_S8_S8_S8_EEEEZNS1_11reduce_implILb1ES3_PS9_SC_S9_12reduce_tupleIifEEE10hipError_tPvRmT1_T2_T3_mT4_P12ihipStream_tbEUlT_E1_NS1_11comp_targetILNS1_3genE5ELNS1_11target_archE942ELNS1_3gpuE9ELNS1_3repE0EEENS1_30default_config_static_selectorELNS0_4arch9wavefront6targetE1EEEvSI_, .Lfunc_end11-_ZN7rocprim17ROCPRIM_400000_NS6detail17trampoline_kernelINS0_14default_configENS1_22reduce_config_selectorIN6thrust23THRUST_200600_302600_NS5tupleIbffNS6_9null_typeES8_S8_S8_S8_S8_S8_EEEEZNS1_11reduce_implILb1ES3_PS9_SC_S9_12reduce_tupleIifEEE10hipError_tPvRmT1_T2_T3_mT4_P12ihipStream_tbEUlT_E1_NS1_11comp_targetILNS1_3genE5ELNS1_11target_archE942ELNS1_3gpuE9ELNS1_3repE0EEENS1_30default_config_static_selectorELNS0_4arch9wavefront6targetE1EEEvSI_
                                        ; -- End function
	.section	.AMDGPU.csdata,"",@progbits
; Kernel info:
; codeLenInByte = 0
; NumSgprs: 4
; NumVgprs: 0
; NumAgprs: 0
; TotalNumVgprs: 0
; ScratchSize: 0
; MemoryBound: 0
; FloatMode: 240
; IeeeMode: 1
; LDSByteSize: 0 bytes/workgroup (compile time only)
; SGPRBlocks: 0
; VGPRBlocks: 0
; NumSGPRsForWavesPerEU: 4
; NumVGPRsForWavesPerEU: 1
; AccumOffset: 4
; Occupancy: 8
; WaveLimiterHint : 0
; COMPUTE_PGM_RSRC2:SCRATCH_EN: 0
; COMPUTE_PGM_RSRC2:USER_SGPR: 6
; COMPUTE_PGM_RSRC2:TRAP_HANDLER: 0
; COMPUTE_PGM_RSRC2:TGID_X_EN: 1
; COMPUTE_PGM_RSRC2:TGID_Y_EN: 0
; COMPUTE_PGM_RSRC2:TGID_Z_EN: 0
; COMPUTE_PGM_RSRC2:TIDIG_COMP_CNT: 0
; COMPUTE_PGM_RSRC3_GFX90A:ACCUM_OFFSET: 0
; COMPUTE_PGM_RSRC3_GFX90A:TG_SPLIT: 0
	.section	.text._ZN7rocprim17ROCPRIM_400000_NS6detail17trampoline_kernelINS0_14default_configENS1_22reduce_config_selectorIN6thrust23THRUST_200600_302600_NS5tupleIbffNS6_9null_typeES8_S8_S8_S8_S8_S8_EEEEZNS1_11reduce_implILb1ES3_PS9_SC_S9_12reduce_tupleIifEEE10hipError_tPvRmT1_T2_T3_mT4_P12ihipStream_tbEUlT_E1_NS1_11comp_targetILNS1_3genE4ELNS1_11target_archE910ELNS1_3gpuE8ELNS1_3repE0EEENS1_30default_config_static_selectorELNS0_4arch9wavefront6targetE1EEEvSI_,"axG",@progbits,_ZN7rocprim17ROCPRIM_400000_NS6detail17trampoline_kernelINS0_14default_configENS1_22reduce_config_selectorIN6thrust23THRUST_200600_302600_NS5tupleIbffNS6_9null_typeES8_S8_S8_S8_S8_S8_EEEEZNS1_11reduce_implILb1ES3_PS9_SC_S9_12reduce_tupleIifEEE10hipError_tPvRmT1_T2_T3_mT4_P12ihipStream_tbEUlT_E1_NS1_11comp_targetILNS1_3genE4ELNS1_11target_archE910ELNS1_3gpuE8ELNS1_3repE0EEENS1_30default_config_static_selectorELNS0_4arch9wavefront6targetE1EEEvSI_,comdat
	.protected	_ZN7rocprim17ROCPRIM_400000_NS6detail17trampoline_kernelINS0_14default_configENS1_22reduce_config_selectorIN6thrust23THRUST_200600_302600_NS5tupleIbffNS6_9null_typeES8_S8_S8_S8_S8_S8_EEEEZNS1_11reduce_implILb1ES3_PS9_SC_S9_12reduce_tupleIifEEE10hipError_tPvRmT1_T2_T3_mT4_P12ihipStream_tbEUlT_E1_NS1_11comp_targetILNS1_3genE4ELNS1_11target_archE910ELNS1_3gpuE8ELNS1_3repE0EEENS1_30default_config_static_selectorELNS0_4arch9wavefront6targetE1EEEvSI_ ; -- Begin function _ZN7rocprim17ROCPRIM_400000_NS6detail17trampoline_kernelINS0_14default_configENS1_22reduce_config_selectorIN6thrust23THRUST_200600_302600_NS5tupleIbffNS6_9null_typeES8_S8_S8_S8_S8_S8_EEEEZNS1_11reduce_implILb1ES3_PS9_SC_S9_12reduce_tupleIifEEE10hipError_tPvRmT1_T2_T3_mT4_P12ihipStream_tbEUlT_E1_NS1_11comp_targetILNS1_3genE4ELNS1_11target_archE910ELNS1_3gpuE8ELNS1_3repE0EEENS1_30default_config_static_selectorELNS0_4arch9wavefront6targetE1EEEvSI_
	.globl	_ZN7rocprim17ROCPRIM_400000_NS6detail17trampoline_kernelINS0_14default_configENS1_22reduce_config_selectorIN6thrust23THRUST_200600_302600_NS5tupleIbffNS6_9null_typeES8_S8_S8_S8_S8_S8_EEEEZNS1_11reduce_implILb1ES3_PS9_SC_S9_12reduce_tupleIifEEE10hipError_tPvRmT1_T2_T3_mT4_P12ihipStream_tbEUlT_E1_NS1_11comp_targetILNS1_3genE4ELNS1_11target_archE910ELNS1_3gpuE8ELNS1_3repE0EEENS1_30default_config_static_selectorELNS0_4arch9wavefront6targetE1EEEvSI_
	.p2align	8
	.type	_ZN7rocprim17ROCPRIM_400000_NS6detail17trampoline_kernelINS0_14default_configENS1_22reduce_config_selectorIN6thrust23THRUST_200600_302600_NS5tupleIbffNS6_9null_typeES8_S8_S8_S8_S8_S8_EEEEZNS1_11reduce_implILb1ES3_PS9_SC_S9_12reduce_tupleIifEEE10hipError_tPvRmT1_T2_T3_mT4_P12ihipStream_tbEUlT_E1_NS1_11comp_targetILNS1_3genE4ELNS1_11target_archE910ELNS1_3gpuE8ELNS1_3repE0EEENS1_30default_config_static_selectorELNS0_4arch9wavefront6targetE1EEEvSI_,@function
_ZN7rocprim17ROCPRIM_400000_NS6detail17trampoline_kernelINS0_14default_configENS1_22reduce_config_selectorIN6thrust23THRUST_200600_302600_NS5tupleIbffNS6_9null_typeES8_S8_S8_S8_S8_S8_EEEEZNS1_11reduce_implILb1ES3_PS9_SC_S9_12reduce_tupleIifEEE10hipError_tPvRmT1_T2_T3_mT4_P12ihipStream_tbEUlT_E1_NS1_11comp_targetILNS1_3genE4ELNS1_11target_archE910ELNS1_3gpuE8ELNS1_3repE0EEENS1_30default_config_static_selectorELNS0_4arch9wavefront6targetE1EEEvSI_: ; @_ZN7rocprim17ROCPRIM_400000_NS6detail17trampoline_kernelINS0_14default_configENS1_22reduce_config_selectorIN6thrust23THRUST_200600_302600_NS5tupleIbffNS6_9null_typeES8_S8_S8_S8_S8_S8_EEEEZNS1_11reduce_implILb1ES3_PS9_SC_S9_12reduce_tupleIifEEE10hipError_tPvRmT1_T2_T3_mT4_P12ihipStream_tbEUlT_E1_NS1_11comp_targetILNS1_3genE4ELNS1_11target_archE910ELNS1_3gpuE8ELNS1_3repE0EEENS1_30default_config_static_selectorELNS0_4arch9wavefront6targetE1EEEvSI_
; %bb.0:
	s_load_dword s48, s[4:5], 0x4
	s_load_dwordx4 s[36:39], s[4:5], 0x8
	s_load_dword s33, s[4:5], 0x20
	s_load_dwordx2 s[34:35], s[4:5], 0x24
	s_waitcnt lgkmcnt(0)
	s_cmp_lt_i32 s48, 4
	s_cbranch_scc1 .LBB12_102
; %bb.1:
	s_cmp_gt_i32 s48, 7
	s_cbranch_scc0 .LBB12_103
; %bb.2:
	s_cmp_gt_i32 s48, 15
	s_cbranch_scc0 .LBB12_104
; %bb.3:
	s_cmp_eq_u32 s48, 16
	s_mov_b64 s[40:41], 0
	s_cbranch_scc0 .LBB12_105
; %bb.4:
	s_lshl_b32 s10, s6, 12
	s_lshr_b64 s[0:1], s[38:39], 12
	s_mul_i32 s2, s6, 0xc000
	s_mul_hi_u32 s3, s10, 12
	s_add_u32 s42, s36, s2
	s_mov_b32 s7, 0
	s_addc_u32 s43, s37, s3
	s_cmp_lg_u64 s[0:1], s[6:7]
	s_cbranch_scc0 .LBB12_174
; %bb.5:
	v_mad_u64_u32 v[32:33], s[0:1], v0, 12, s[42:43]
	v_add_co_u32_e32 v2, vcc, 0x1000, v32
	v_addc_co_u32_e32 v3, vcc, 0, v33, vcc
	v_add_co_u32_e32 v4, vcc, 0x2000, v32
	v_addc_co_u32_e32 v5, vcc, 0, v33, vcc
	;; [unrolled: 2-line block ×3, first 2 shown]
	global_load_ubyte v48, v[32:33], off
	global_load_ubyte v47, v[32:33], off offset:3072
	global_load_ubyte v46, v[2:3], off offset:2048
	global_load_dwordx2 v[30:31], v[32:33], off offset:3076
	global_load_dwordx2 v[26:27], v[4:5], off offset:1028
	global_load_ubyte v44, v[6:7], off
	global_load_ubyte v45, v[4:5], off offset:1024
	global_load_dwordx2 v[28:29], v[2:3], off offset:2052
	v_add_co_u32_e32 v2, vcc, 0x4000, v32
	v_addc_co_u32_e32 v3, vcc, 0, v33, vcc
	v_add_co_u32_e32 v4, vcc, 0x5000, v32
	v_addc_co_u32_e32 v5, vcc, 0, v33, vcc
	;; [unrolled: 2-line block ×7, first 2 shown]
	v_add_co_u32_e32 v58, vcc, 0xb000, v32
	global_load_ubyte v42, v[2:3], off offset:2048
	global_load_dwordx2 v[22:23], v[6:7], off offset:3076
	global_load_ubyte v43, v[6:7], off offset:3072
	global_load_dwordx2 v[24:25], v[6:7], off offset:4
	global_load_ubyte v40, v[8:9], off
	global_load_dwordx2 v[18:19], v[4:5], off offset:1028
	global_load_ubyte v41, v[4:5], off offset:1024
	global_load_dwordx2 v[20:21], v[2:3], off offset:2052
	global_load_dwordx2 v[14:15], v[8:9], off offset:3076
	global_load_ubyte v38, v[50:51], off offset:2048
	global_load_ubyte v39, v[8:9], off offset:3072
	global_load_dwordx2 v[16:17], v[8:9], off offset:4
	v_addc_co_u32_e32 v59, vcc, 0, v33, vcc
	global_load_ubyte v36, v[54:55], off
	global_load_dwordx2 v[10:11], v[52:53], off offset:1028
	global_load_ubyte v37, v[52:53], off offset:1024
	global_load_dwordx2 v[12:13], v[50:51], off offset:2052
	global_load_ubyte v34, v[56:57], off offset:2048
	;; [unrolled: 2-line block ×3, first 2 shown]
	global_load_dwordx2 v[8:9], v[54:55], off offset:4
	global_load_dwordx2 v[2:3], v[58:59], off offset:1028
	global_load_ubyte v1, v[58:59], off offset:1024
	global_load_dwordx2 v[4:5], v[56:57], off offset:2052
	s_waitcnt vmcnt(30)
	v_and_b32_e32 v49, 1, v48
	v_cmp_eq_u32_e32 vcc, 1, v49
	s_and_saveexec_b64 s[0:1], vcc
	s_cbranch_execz .LBB12_9
; %bb.6:
	global_load_dwordx2 v[32:33], v[32:33], off offset:4
	s_waitcnt vmcnt(30)
	v_and_b32_e32 v47, 1, v47
	v_cmp_eq_u32_e32 vcc, 1, v47
	s_and_saveexec_b64 s[2:3], vcc
	s_cbranch_execz .LBB12_8
; %bb.7:
	s_waitcnt vmcnt(0)
	v_cmp_lt_f32_e32 vcc, v33, v31
	v_cndmask_b32_e32 v33, v33, v31, vcc
	v_cmp_lt_f32_e32 vcc, v30, v32
	v_cndmask_b32_e32 v32, v32, v30, vcc
	v_mov_b32_e32 v48, 1
.LBB12_8:
	s_or_b64 exec, exec, s[2:3]
	v_mov_b32_e32 v47, v48
	s_waitcnt vmcnt(0)
	v_pk_mov_b32 v[30:31], v[32:33], v[32:33] op_sel:[0,1]
.LBB12_9:
	s_or_b64 exec, exec, s[0:1]
	s_waitcnt vmcnt(29)
	v_and_b32_e32 v32, 1, v47
	v_cmp_eq_u32_e32 vcc, 1, v32
	s_and_saveexec_b64 s[0:1], vcc
	s_cbranch_execz .LBB12_13
; %bb.10:
	s_waitcnt vmcnt(28)
	v_and_b32_e32 v32, 1, v46
	v_cmp_eq_u32_e32 vcc, 1, v32
	s_and_saveexec_b64 s[2:3], vcc
	s_cbranch_execz .LBB12_12
; %bb.11:
	s_waitcnt vmcnt(23)
	v_cmp_lt_f32_e32 vcc, v31, v29
	v_cndmask_b32_e32 v31, v31, v29, vcc
	v_cmp_lt_f32_e32 vcc, v28, v30
	v_cndmask_b32_e32 v30, v30, v28, vcc
	v_mov_b32_e32 v47, 1
.LBB12_12:
	s_or_b64 exec, exec, s[2:3]
	v_mov_b32_e32 v46, v47
	s_waitcnt vmcnt(23)
	v_pk_mov_b32 v[28:29], v[30:31], v[30:31] op_sel:[0,1]
.LBB12_13:
	s_or_b64 exec, exec, s[0:1]
	s_waitcnt vmcnt(27)
	v_and_b32_e32 v30, 1, v46
	v_cmp_eq_u32_e32 vcc, 1, v30
	s_and_saveexec_b64 s[0:1], vcc
	s_cbranch_execz .LBB12_17
; %bb.14:
	s_waitcnt vmcnt(24)
	v_and_b32_e32 v30, 1, v45
	v_cmp_eq_u32_e32 vcc, 1, v30
	s_and_saveexec_b64 s[2:3], vcc
	s_cbranch_execz .LBB12_16
; %bb.15:
	s_waitcnt vmcnt(23)
	v_cmp_lt_f32_e32 vcc, v29, v27
	v_cndmask_b32_e32 v29, v29, v27, vcc
	v_cmp_lt_f32_e32 vcc, v26, v28
	v_cndmask_b32_e32 v28, v28, v26, vcc
	v_mov_b32_e32 v46, 1
.LBB12_16:
	s_or_b64 exec, exec, s[2:3]
	v_mov_b32_e32 v45, v46
	s_waitcnt vmcnt(23)
	v_pk_mov_b32 v[26:27], v[28:29], v[28:29] op_sel:[0,1]
.LBB12_17:
	s_or_b64 exec, exec, s[0:1]
	s_waitcnt vmcnt(23)
	v_and_b32_e32 v28, 1, v45
	v_cmp_eq_u32_e32 vcc, 1, v28
	s_and_saveexec_b64 s[0:1], vcc
	s_cbranch_execz .LBB12_21
; %bb.18:
	v_and_b32_e32 v28, 1, v44
	v_cmp_eq_u32_e32 vcc, 1, v28
	s_and_saveexec_b64 s[2:3], vcc
	s_cbranch_execz .LBB12_20
; %bb.19:
	s_waitcnt vmcnt(19)
	v_cmp_lt_f32_e32 vcc, v27, v25
	v_cndmask_b32_e32 v27, v27, v25, vcc
	v_cmp_lt_f32_e32 vcc, v24, v26
	v_cndmask_b32_e32 v26, v26, v24, vcc
	v_mov_b32_e32 v45, 1
.LBB12_20:
	s_or_b64 exec, exec, s[2:3]
	v_mov_b32_e32 v44, v45
	s_waitcnt vmcnt(19)
	v_pk_mov_b32 v[24:25], v[26:27], v[26:27] op_sel:[0,1]
.LBB12_21:
	s_or_b64 exec, exec, s[0:1]
	v_and_b32_e32 v26, 1, v44
	v_cmp_eq_u32_e32 vcc, 1, v26
	s_and_saveexec_b64 s[0:1], vcc
	s_cbranch_execz .LBB12_25
; %bb.22:
	s_waitcnt vmcnt(20)
	v_and_b32_e32 v26, 1, v43
	v_cmp_eq_u32_e32 vcc, 1, v26
	s_and_saveexec_b64 s[2:3], vcc
	s_cbranch_execz .LBB12_24
; %bb.23:
	s_waitcnt vmcnt(19)
	v_cmp_lt_f32_e32 vcc, v25, v23
	v_cndmask_b32_e32 v25, v25, v23, vcc
	v_cmp_lt_f32_e32 vcc, v22, v24
	v_cndmask_b32_e32 v24, v24, v22, vcc
	v_mov_b32_e32 v44, 1
.LBB12_24:
	s_or_b64 exec, exec, s[2:3]
	v_mov_b32_e32 v43, v44
	s_waitcnt vmcnt(19)
	v_pk_mov_b32 v[22:23], v[24:25], v[24:25] op_sel:[0,1]
.LBB12_25:
	s_or_b64 exec, exec, s[0:1]
	s_waitcnt vmcnt(19)
	v_and_b32_e32 v24, 1, v43
	v_cmp_eq_u32_e32 vcc, 1, v24
	s_and_saveexec_b64 s[0:1], vcc
	s_cbranch_execz .LBB12_29
; %bb.26:
	v_and_b32_e32 v24, 1, v42
	v_cmp_eq_u32_e32 vcc, 1, v24
	s_and_saveexec_b64 s[2:3], vcc
	s_cbranch_execz .LBB12_28
; %bb.27:
	s_waitcnt vmcnt(15)
	v_cmp_lt_f32_e32 vcc, v23, v21
	v_cndmask_b32_e32 v23, v23, v21, vcc
	v_cmp_lt_f32_e32 vcc, v20, v22
	v_cndmask_b32_e32 v22, v22, v20, vcc
	v_mov_b32_e32 v43, 1
.LBB12_28:
	s_or_b64 exec, exec, s[2:3]
	v_mov_b32_e32 v42, v43
	s_waitcnt vmcnt(15)
	v_pk_mov_b32 v[20:21], v[22:23], v[22:23] op_sel:[0,1]
.LBB12_29:
	s_or_b64 exec, exec, s[0:1]
	;; [unrolled: 48-line block ×6, first 2 shown]
	v_and_b32_e32 v6, 1, v34
	v_cmp_eq_u32_e32 vcc, 1, v6
	s_and_saveexec_b64 s[0:1], vcc
	s_cbranch_execz .LBB12_65
; %bb.62:
	s_waitcnt vmcnt(1)
	v_and_b32_e32 v1, 1, v1
	v_cmp_eq_u32_e32 vcc, 1, v1
	s_and_saveexec_b64 s[2:3], vcc
	s_cbranch_execz .LBB12_64
; %bb.63:
	s_waitcnt vmcnt(0)
	v_cmp_lt_f32_e32 vcc, v5, v3
	v_cndmask_b32_e32 v5, v5, v3, vcc
	v_cmp_lt_f32_e32 vcc, v2, v4
	v_cndmask_b32_e32 v4, v4, v2, vcc
	v_mov_b32_e32 v34, 1
.LBB12_64:
	s_or_b64 exec, exec, s[2:3]
	v_mov_b32_e32 v1, v34
	s_waitcnt vmcnt(0)
	v_pk_mov_b32 v[2:3], v[4:5], v[4:5] op_sel:[0,1]
.LBB12_65:
	s_or_b64 exec, exec, s[0:1]
	s_waitcnt vmcnt(0)
	v_and_b32_e32 v4, 0xff, v1
	v_mov_b32_dpp v5, v3 quad_perm:[1,0,3,2] row_mask:0xf bank_mask:0xf bound_ctrl:1
	s_nop 0
	v_mov_b32_dpp v6, v4 quad_perm:[1,0,3,2] row_mask:0xf bank_mask:0xf bound_ctrl:1
	v_and_b32_e32 v7, 1, v6
	v_mov_b32_dpp v4, v2 quad_perm:[1,0,3,2] row_mask:0xf bank_mask:0xf bound_ctrl:1
	v_cmp_eq_u32_e32 vcc, 1, v7
	s_and_saveexec_b64 s[0:1], vcc
	s_xor_b64 s[0:1], exec, s[0:1]
	s_cbranch_execz .LBB12_69
; %bb.66:
	v_and_b32_e32 v1, 1, v1
	v_cmp_eq_u32_e32 vcc, 1, v1
	s_and_saveexec_b64 s[2:3], vcc
; %bb.67:
	v_cmp_gt_f32_e32 vcc, v3, v5
	v_cndmask_b32_e32 v5, v5, v3, vcc
	v_cmp_lt_f32_e32 vcc, v2, v4
	v_cndmask_b32_e32 v4, v4, v2, vcc
	v_mov_b32_e32 v6, 1
; %bb.68:
	s_or_b64 exec, exec, s[2:3]
	v_mov_b32_e32 v1, v6
	v_pk_mov_b32 v[2:3], v[4:5], v[4:5] op_sel:[0,1]
.LBB12_69:
	s_or_b64 exec, exec, s[0:1]
	v_and_b32_e32 v4, 0xff, v1
	v_mov_b32_dpp v5, v3 quad_perm:[2,3,0,1] row_mask:0xf bank_mask:0xf bound_ctrl:1
	s_nop 0
	v_mov_b32_dpp v6, v4 quad_perm:[2,3,0,1] row_mask:0xf bank_mask:0xf bound_ctrl:1
	v_and_b32_e32 v7, 1, v6
	v_mov_b32_dpp v4, v2 quad_perm:[2,3,0,1] row_mask:0xf bank_mask:0xf bound_ctrl:1
	v_cmp_eq_u32_e32 vcc, 1, v7
	s_and_saveexec_b64 s[0:1], vcc
	s_cbranch_execz .LBB12_73
; %bb.70:
	v_and_b32_e32 v1, 1, v1
	v_cmp_eq_u32_e32 vcc, 1, v1
	s_and_saveexec_b64 s[2:3], vcc
; %bb.71:
	v_cmp_lt_f32_e32 vcc, v5, v3
	v_cndmask_b32_e32 v5, v5, v3, vcc
	v_cmp_lt_f32_e32 vcc, v2, v4
	v_cndmask_b32_e32 v4, v4, v2, vcc
	v_mov_b32_e32 v6, 1
; %bb.72:
	s_or_b64 exec, exec, s[2:3]
	v_mov_b32_e32 v1, v6
	v_pk_mov_b32 v[2:3], v[4:5], v[4:5] op_sel:[0,1]
.LBB12_73:
	s_or_b64 exec, exec, s[0:1]
	v_and_b32_e32 v4, 0xff, v1
	v_mov_b32_dpp v5, v3 row_ror:4 row_mask:0xf bank_mask:0xf bound_ctrl:1
	s_nop 0
	v_mov_b32_dpp v6, v4 row_ror:4 row_mask:0xf bank_mask:0xf bound_ctrl:1
	v_and_b32_e32 v7, 1, v6
	v_mov_b32_dpp v4, v2 row_ror:4 row_mask:0xf bank_mask:0xf bound_ctrl:1
	v_cmp_eq_u32_e32 vcc, 1, v7
	s_and_saveexec_b64 s[0:1], vcc
	s_cbranch_execz .LBB12_77
; %bb.74:
	v_and_b32_e32 v1, 1, v1
	v_cmp_eq_u32_e32 vcc, 1, v1
	s_and_saveexec_b64 s[2:3], vcc
; %bb.75:
	v_cmp_lt_f32_e32 vcc, v5, v3
	v_cndmask_b32_e32 v5, v5, v3, vcc
	v_cmp_lt_f32_e32 vcc, v2, v4
	v_cndmask_b32_e32 v4, v4, v2, vcc
	v_mov_b32_e32 v6, 1
; %bb.76:
	s_or_b64 exec, exec, s[2:3]
	v_mov_b32_e32 v1, v6
	v_pk_mov_b32 v[2:3], v[4:5], v[4:5] op_sel:[0,1]
.LBB12_77:
	s_or_b64 exec, exec, s[0:1]
	v_and_b32_e32 v4, 0xff, v1
	v_mov_b32_dpp v5, v3 row_ror:8 row_mask:0xf bank_mask:0xf bound_ctrl:1
	s_nop 0
	v_mov_b32_dpp v6, v4 row_ror:8 row_mask:0xf bank_mask:0xf bound_ctrl:1
	v_and_b32_e32 v7, 1, v6
	v_mov_b32_dpp v4, v2 row_ror:8 row_mask:0xf bank_mask:0xf bound_ctrl:1
	v_cmp_eq_u32_e32 vcc, 1, v7
	s_and_saveexec_b64 s[0:1], vcc
	s_cbranch_execz .LBB12_81
; %bb.78:
	v_and_b32_e32 v1, 1, v1
	v_cmp_eq_u32_e32 vcc, 1, v1
	s_and_saveexec_b64 s[2:3], vcc
; %bb.79:
	v_cmp_lt_f32_e32 vcc, v5, v3
	v_cndmask_b32_e32 v5, v5, v3, vcc
	v_cmp_lt_f32_e32 vcc, v2, v4
	v_cndmask_b32_e32 v4, v4, v2, vcc
	v_mov_b32_e32 v6, 1
; %bb.80:
	s_or_b64 exec, exec, s[2:3]
	v_mov_b32_e32 v1, v6
	v_pk_mov_b32 v[2:3], v[4:5], v[4:5] op_sel:[0,1]
.LBB12_81:
	s_or_b64 exec, exec, s[0:1]
	v_and_b32_e32 v4, 0xff, v1
	v_mov_b32_dpp v5, v3 row_bcast:15 row_mask:0xf bank_mask:0xf bound_ctrl:1
	s_nop 0
	v_mov_b32_dpp v6, v4 row_bcast:15 row_mask:0xf bank_mask:0xf bound_ctrl:1
	v_and_b32_e32 v7, 1, v6
	v_mov_b32_dpp v4, v2 row_bcast:15 row_mask:0xf bank_mask:0xf bound_ctrl:1
	v_cmp_eq_u32_e32 vcc, 1, v7
	s_and_saveexec_b64 s[0:1], vcc
	s_cbranch_execz .LBB12_85
; %bb.82:
	v_and_b32_e32 v1, 1, v1
	v_cmp_eq_u32_e32 vcc, 1, v1
	s_and_saveexec_b64 s[2:3], vcc
; %bb.83:
	v_cmp_lt_f32_e32 vcc, v5, v3
	v_cndmask_b32_e32 v5, v5, v3, vcc
	v_cmp_lt_f32_e32 vcc, v2, v4
	v_cndmask_b32_e32 v4, v4, v2, vcc
	v_mov_b32_e32 v6, 1
; %bb.84:
	s_or_b64 exec, exec, s[2:3]
	v_mov_b32_e32 v1, v6
	v_pk_mov_b32 v[2:3], v[4:5], v[4:5] op_sel:[0,1]
.LBB12_85:
	s_or_b64 exec, exec, s[0:1]
	v_and_b32_e32 v4, 0xff, v1
	v_mov_b32_dpp v5, v3 row_bcast:31 row_mask:0xf bank_mask:0xf bound_ctrl:1
	s_nop 0
	v_mov_b32_dpp v6, v4 row_bcast:31 row_mask:0xf bank_mask:0xf bound_ctrl:1
	v_and_b32_e32 v7, 1, v6
	v_mov_b32_dpp v4, v2 row_bcast:31 row_mask:0xf bank_mask:0xf bound_ctrl:1
	v_cmp_eq_u32_e32 vcc, 1, v7
	s_and_saveexec_b64 s[0:1], vcc
	s_cbranch_execz .LBB12_89
; %bb.86:
	v_and_b32_e32 v1, 1, v1
	v_cmp_eq_u32_e32 vcc, 1, v1
	s_and_saveexec_b64 s[2:3], vcc
; %bb.87:
	v_cmp_lt_f32_e32 vcc, v5, v3
	v_cndmask_b32_e32 v5, v5, v3, vcc
	v_cmp_lt_f32_e32 vcc, v2, v4
	v_cndmask_b32_e32 v4, v4, v2, vcc
	v_mov_b32_e32 v6, 1
; %bb.88:
	s_or_b64 exec, exec, s[2:3]
	v_mov_b32_e32 v1, v6
	v_pk_mov_b32 v[2:3], v[4:5], v[4:5] op_sel:[0,1]
.LBB12_89:
	s_or_b64 exec, exec, s[0:1]
	v_mbcnt_lo_u32_b32 v4, -1, 0
	v_mbcnt_hi_u32_b32 v6, -1, v4
	v_bfrev_b32_e32 v4, 0.5
	v_and_b32_e32 v1, 0xff, v1
	v_lshl_or_b32 v4, v6, 2, v4
	ds_bpermute_b32 v9, v4, v1
	ds_bpermute_b32 v2, v4, v2
	;; [unrolled: 1-line block ×3, first 2 shown]
	v_cmp_eq_u32_e32 vcc, 0, v6
	s_and_saveexec_b64 s[0:1], vcc
	s_cbranch_execz .LBB12_91
; %bb.90:
	v_lshrrev_b32_e32 v1, 6, v0
	v_mul_u32_u24_e32 v1, 12, v1
	s_waitcnt lgkmcnt(2)
	ds_write_b8 v1, v9 offset:48
	s_waitcnt lgkmcnt(1)
	ds_write2_b32 v1, v2, v3 offset0:13 offset1:14
.LBB12_91:
	s_or_b64 exec, exec, s[0:1]
	v_cmp_gt_u32_e32 vcc, 64, v0
	s_waitcnt lgkmcnt(0)
	s_barrier
	s_and_saveexec_b64 s[0:1], vcc
	s_cbranch_execz .LBB12_101
; %bb.92:
	v_and_b32_e32 v7, 3, v6
	v_mul_u32_u24_e32 v1, 12, v7
	ds_read_u8 v8, v1 offset:48
	ds_read2_b32 v[2:3], v1 offset0:13 offset1:14
	v_cmp_ne_u32_e32 vcc, 3, v7
	v_addc_co_u32_e32 v1, vcc, 0, v6, vcc
	s_waitcnt lgkmcnt(1)
	v_and_b32_e32 v4, 0xff, v8
	v_lshlrev_b32_e32 v5, 2, v1
	ds_bpermute_b32 v1, v5, v4
	s_waitcnt lgkmcnt(1)
	ds_bpermute_b32 v4, v5, v2
	ds_bpermute_b32 v5, v5, v3
	v_and_b32_e32 v9, 1, v8
	v_cmp_eq_u32_e32 vcc, 1, v9
	s_and_saveexec_b64 s[2:3], vcc
	s_cbranch_execz .LBB12_96
; %bb.93:
	s_waitcnt lgkmcnt(2)
	v_and_b32_e32 v1, 1, v1
	v_cmp_eq_u32_e32 vcc, 1, v1
	s_and_saveexec_b64 s[8:9], vcc
	s_cbranch_execz .LBB12_95
; %bb.94:
	s_waitcnt lgkmcnt(0)
	v_cmp_gt_f32_e32 vcc, v5, v3
	v_cndmask_b32_e32 v3, v3, v5, vcc
	v_cmp_gt_f32_e32 vcc, v2, v4
	v_cndmask_b32_e32 v2, v2, v4, vcc
	v_mov_b32_e32 v8, 1
.LBB12_95:
	s_or_b64 exec, exec, s[8:9]
	v_mov_b32_e32 v1, v8
	s_waitcnt lgkmcnt(0)
	v_pk_mov_b32 v[4:5], v[2:3], v[2:3] op_sel:[0,1]
.LBB12_96:
	s_or_b64 exec, exec, s[2:3]
	v_cmp_gt_u32_e32 vcc, 2, v7
	v_cndmask_b32_e64 v3, 0, 1, vcc
	v_lshlrev_b32_e32 v3, 1, v3
	s_waitcnt lgkmcnt(2)
	v_and_b32_e32 v2, 0xff, v1
	v_add_lshl_u32 v3, v3, v6, 2
	ds_bpermute_b32 v6, v3, v2
	s_waitcnt lgkmcnt(2)
	ds_bpermute_b32 v2, v3, v4
	s_waitcnt lgkmcnt(2)
	ds_bpermute_b32 v3, v3, v5
	v_and_b32_e32 v7, 1, v1
	v_cmp_eq_u32_e32 vcc, 1, v7
	s_and_saveexec_b64 s[2:3], vcc
	s_cbranch_execz .LBB12_100
; %bb.97:
	s_waitcnt lgkmcnt(2)
	v_and_b32_e32 v6, 1, v6
	v_cmp_eq_u32_e32 vcc, 1, v6
	s_and_saveexec_b64 s[8:9], vcc
	s_cbranch_execz .LBB12_99
; %bb.98:
	s_waitcnt lgkmcnt(0)
	v_cmp_gt_f32_e32 vcc, v3, v5
	v_cndmask_b32_e32 v5, v5, v3, vcc
	v_cmp_gt_f32_e32 vcc, v4, v2
	v_cndmask_b32_e32 v4, v4, v2, vcc
	v_mov_b32_e32 v1, 1
.LBB12_99:
	s_or_b64 exec, exec, s[8:9]
	v_mov_b32_e32 v6, v1
	s_waitcnt lgkmcnt(0)
	v_pk_mov_b32 v[2:3], v[4:5], v[4:5] op_sel:[0,1]
.LBB12_100:
	s_or_b64 exec, exec, s[2:3]
	s_waitcnt lgkmcnt(2)
	v_and_b32_e32 v9, 0xff, v6
.LBB12_101:
	s_or_b64 exec, exec, s[0:1]
	s_mov_b64 s[0:1], 0
	s_branch .LBB12_175
.LBB12_102:
	s_mov_b64 s[16:17], 0
                                        ; implicit-def: $vgpr4_vgpr5
                                        ; implicit-def: $vgpr1
	s_cbranch_execnz .LBB12_619
	s_branch .LBB12_776
.LBB12_103:
	s_mov_b64 s[16:17], 0
                                        ; implicit-def: $vgpr4_vgpr5
                                        ; implicit-def: $vgpr1
	s_cbranch_execnz .LBB12_479
	s_branch .LBB12_531
.LBB12_104:
	s_mov_b64 s[40:41], -1
.LBB12_105:
	s_mov_b64 s[16:17], 0
                                        ; implicit-def: $vgpr4_vgpr5
                                        ; implicit-def: $vgpr1
	s_and_b64 vcc, exec, s[40:41]
	s_cbranch_vccz .LBB12_382
.LBB12_106:
	s_cmp_eq_u32 s48, 8
	s_cbranch_scc0 .LBB12_173
; %bb.107:
	s_lshl_b32 s10, s6, 11
	s_lshr_b64 s[0:1], s[38:39], 11
	s_mul_i32 s2, s6, 0x6000
	s_mul_hi_u32 s3, s10, 12
	s_add_u32 s18, s36, s2
	s_mov_b32 s7, 0
	s_addc_u32 s19, s37, s3
	s_cmp_lg_u64 s[0:1], s[6:7]
	s_cbranch_scc0 .LBB12_222
; %bb.108:
	v_mad_u64_u32 v[16:17], s[0:1], v0, 12, s[18:19]
	v_add_co_u32_e32 v26, vcc, 0x1000, v16
	v_addc_co_u32_e32 v27, vcc, 0, v17, vcc
	v_add_co_u32_e32 v28, vcc, 0x2000, v16
	v_addc_co_u32_e32 v29, vcc, 0, v17, vcc
	;; [unrolled: 2-line block ×4, first 2 shown]
	v_add_co_u32_e32 v34, vcc, 0x5000, v16
	global_load_ubyte v24, v[16:17], off
	global_load_ubyte v23, v[16:17], off offset:3072
	global_load_dwordx2 v[14:15], v[16:17], off offset:3076
	global_load_ubyte v22, v[26:27], off offset:2048
	v_addc_co_u32_e32 v35, vcc, 0, v17, vcc
	global_load_ubyte v20, v[30:31], off
	global_load_dwordx2 v[10:11], v[28:29], off offset:1028
	global_load_ubyte v21, v[28:29], off offset:1024
	global_load_dwordx2 v[12:13], v[26:27], off offset:2052
	global_load_ubyte v18, v[32:33], off offset:2048
	s_waitcnt lgkmcnt(2)
	global_load_dwordx2 v[6:7], v[30:31], off offset:3076
	global_load_ubyte v19, v[30:31], off offset:3072
	global_load_dwordx2 v[8:9], v[30:31], off offset:4
	s_waitcnt lgkmcnt(0)
	global_load_dwordx2 v[2:3], v[34:35], off offset:1028
	global_load_ubyte v1, v[34:35], off offset:1024
	global_load_dwordx2 v[4:5], v[32:33], off offset:2052
	s_waitcnt vmcnt(14)
	v_and_b32_e32 v25, 1, v24
	v_cmp_eq_u32_e32 vcc, 1, v25
	s_and_saveexec_b64 s[0:1], vcc
	s_cbranch_execz .LBB12_112
; %bb.109:
	global_load_dwordx2 v[16:17], v[16:17], off offset:4
	s_waitcnt vmcnt(14)
	v_and_b32_e32 v23, 1, v23
	v_cmp_eq_u32_e32 vcc, 1, v23
	s_and_saveexec_b64 s[2:3], vcc
	s_cbranch_execz .LBB12_111
; %bb.110:
	s_waitcnt vmcnt(0)
	v_cmp_lt_f32_e32 vcc, v17, v15
	v_cndmask_b32_e32 v17, v17, v15, vcc
	v_cmp_lt_f32_e32 vcc, v14, v16
	v_cndmask_b32_e32 v16, v16, v14, vcc
	v_mov_b32_e32 v24, 1
.LBB12_111:
	s_or_b64 exec, exec, s[2:3]
	v_mov_b32_e32 v23, v24
	s_waitcnt vmcnt(0)
	v_pk_mov_b32 v[14:15], v[16:17], v[16:17] op_sel:[0,1]
.LBB12_112:
	s_or_b64 exec, exec, s[0:1]
	s_waitcnt vmcnt(13)
	v_and_b32_e32 v16, 1, v23
	v_cmp_eq_u32_e32 vcc, 1, v16
	s_and_saveexec_b64 s[0:1], vcc
	s_cbranch_execz .LBB12_116
; %bb.113:
	s_waitcnt vmcnt(11)
	v_and_b32_e32 v16, 1, v22
	v_cmp_eq_u32_e32 vcc, 1, v16
	s_and_saveexec_b64 s[2:3], vcc
	s_cbranch_execz .LBB12_115
; %bb.114:
	s_waitcnt vmcnt(7)
	v_cmp_lt_f32_e32 vcc, v15, v13
	v_cndmask_b32_e32 v15, v15, v13, vcc
	v_cmp_lt_f32_e32 vcc, v12, v14
	v_cndmask_b32_e32 v14, v14, v12, vcc
	v_mov_b32_e32 v23, 1
.LBB12_115:
	s_or_b64 exec, exec, s[2:3]
	v_mov_b32_e32 v22, v23
	s_waitcnt vmcnt(7)
	v_pk_mov_b32 v[12:13], v[14:15], v[14:15] op_sel:[0,1]
.LBB12_116:
	s_or_b64 exec, exec, s[0:1]
	s_waitcnt vmcnt(11)
	v_and_b32_e32 v14, 1, v22
	v_cmp_eq_u32_e32 vcc, 1, v14
	s_and_saveexec_b64 s[0:1], vcc
	s_cbranch_execz .LBB12_120
; %bb.117:
	s_waitcnt vmcnt(8)
	v_and_b32_e32 v14, 1, v21
	v_cmp_eq_u32_e32 vcc, 1, v14
	s_and_saveexec_b64 s[2:3], vcc
	s_cbranch_execz .LBB12_119
; %bb.118:
	s_waitcnt vmcnt(7)
	v_cmp_lt_f32_e32 vcc, v13, v11
	v_cndmask_b32_e32 v13, v13, v11, vcc
	v_cmp_lt_f32_e32 vcc, v10, v12
	v_cndmask_b32_e32 v12, v12, v10, vcc
	v_mov_b32_e32 v22, 1
.LBB12_119:
	s_or_b64 exec, exec, s[2:3]
	v_mov_b32_e32 v21, v22
	s_waitcnt vmcnt(7)
	v_pk_mov_b32 v[10:11], v[12:13], v[12:13] op_sel:[0,1]
.LBB12_120:
	s_or_b64 exec, exec, s[0:1]
	s_waitcnt vmcnt(7)
	v_and_b32_e32 v12, 1, v21
	v_cmp_eq_u32_e32 vcc, 1, v12
	s_and_saveexec_b64 s[0:1], vcc
	s_cbranch_execz .LBB12_124
; %bb.121:
	v_and_b32_e32 v12, 1, v20
	v_cmp_eq_u32_e32 vcc, 1, v12
	s_and_saveexec_b64 s[2:3], vcc
	s_cbranch_execz .LBB12_123
; %bb.122:
	s_waitcnt vmcnt(3)
	v_cmp_lt_f32_e32 vcc, v11, v9
	v_cndmask_b32_e32 v11, v11, v9, vcc
	v_cmp_lt_f32_e32 vcc, v8, v10
	v_cndmask_b32_e32 v10, v10, v8, vcc
	v_mov_b32_e32 v21, 1
.LBB12_123:
	s_or_b64 exec, exec, s[2:3]
	v_mov_b32_e32 v20, v21
	s_waitcnt vmcnt(3)
	v_pk_mov_b32 v[8:9], v[10:11], v[10:11] op_sel:[0,1]
.LBB12_124:
	s_or_b64 exec, exec, s[0:1]
	v_and_b32_e32 v10, 1, v20
	v_cmp_eq_u32_e32 vcc, 1, v10
	s_and_saveexec_b64 s[0:1], vcc
	s_cbranch_execz .LBB12_128
; %bb.125:
	s_waitcnt vmcnt(4)
	v_and_b32_e32 v10, 1, v19
	v_cmp_eq_u32_e32 vcc, 1, v10
	s_and_saveexec_b64 s[2:3], vcc
	s_cbranch_execz .LBB12_127
; %bb.126:
	s_waitcnt vmcnt(3)
	v_cmp_lt_f32_e32 vcc, v9, v7
	v_cndmask_b32_e32 v9, v9, v7, vcc
	v_cmp_lt_f32_e32 vcc, v6, v8
	v_cndmask_b32_e32 v8, v8, v6, vcc
	v_mov_b32_e32 v20, 1
.LBB12_127:
	s_or_b64 exec, exec, s[2:3]
	v_mov_b32_e32 v19, v20
	s_waitcnt vmcnt(3)
	v_pk_mov_b32 v[6:7], v[8:9], v[8:9] op_sel:[0,1]
.LBB12_128:
	s_or_b64 exec, exec, s[0:1]
	s_waitcnt vmcnt(3)
	v_and_b32_e32 v8, 1, v19
	v_cmp_eq_u32_e32 vcc, 1, v8
	s_and_saveexec_b64 s[0:1], vcc
	s_cbranch_execz .LBB12_132
; %bb.129:
	v_and_b32_e32 v8, 1, v18
	v_cmp_eq_u32_e32 vcc, 1, v8
	s_and_saveexec_b64 s[2:3], vcc
	s_cbranch_execz .LBB12_131
; %bb.130:
	s_waitcnt vmcnt(0)
	v_cmp_lt_f32_e32 vcc, v7, v5
	v_cndmask_b32_e32 v7, v7, v5, vcc
	v_cmp_lt_f32_e32 vcc, v4, v6
	v_cndmask_b32_e32 v6, v6, v4, vcc
	v_mov_b32_e32 v19, 1
.LBB12_131:
	s_or_b64 exec, exec, s[2:3]
	v_mov_b32_e32 v18, v19
	s_waitcnt vmcnt(0)
	v_pk_mov_b32 v[4:5], v[6:7], v[6:7] op_sel:[0,1]
.LBB12_132:
	s_or_b64 exec, exec, s[0:1]
	v_and_b32_e32 v6, 1, v18
	v_cmp_eq_u32_e32 vcc, 1, v6
	s_and_saveexec_b64 s[0:1], vcc
	s_cbranch_execz .LBB12_136
; %bb.133:
	s_waitcnt vmcnt(1)
	v_and_b32_e32 v1, 1, v1
	v_cmp_eq_u32_e32 vcc, 1, v1
	s_and_saveexec_b64 s[2:3], vcc
	s_cbranch_execz .LBB12_135
; %bb.134:
	s_waitcnt vmcnt(0)
	v_cmp_lt_f32_e32 vcc, v5, v3
	v_cndmask_b32_e32 v5, v5, v3, vcc
	v_cmp_lt_f32_e32 vcc, v2, v4
	v_cndmask_b32_e32 v4, v4, v2, vcc
	v_mov_b32_e32 v18, 1
.LBB12_135:
	s_or_b64 exec, exec, s[2:3]
	v_mov_b32_e32 v1, v18
	s_waitcnt vmcnt(0)
	v_pk_mov_b32 v[2:3], v[4:5], v[4:5] op_sel:[0,1]
.LBB12_136:
	s_or_b64 exec, exec, s[0:1]
	s_waitcnt vmcnt(0)
	v_and_b32_e32 v4, 0xff, v1
	v_mov_b32_dpp v5, v3 quad_perm:[1,0,3,2] row_mask:0xf bank_mask:0xf bound_ctrl:1
	s_nop 0
	v_mov_b32_dpp v6, v4 quad_perm:[1,0,3,2] row_mask:0xf bank_mask:0xf bound_ctrl:1
	v_and_b32_e32 v7, 1, v6
	v_mov_b32_dpp v4, v2 quad_perm:[1,0,3,2] row_mask:0xf bank_mask:0xf bound_ctrl:1
	v_cmp_eq_u32_e32 vcc, 1, v7
	s_and_saveexec_b64 s[0:1], vcc
	s_xor_b64 s[0:1], exec, s[0:1]
	s_cbranch_execz .LBB12_140
; %bb.137:
	v_and_b32_e32 v1, 1, v1
	v_cmp_eq_u32_e32 vcc, 1, v1
	s_and_saveexec_b64 s[2:3], vcc
; %bb.138:
	v_cmp_gt_f32_e32 vcc, v3, v5
	v_cndmask_b32_e32 v5, v5, v3, vcc
	v_cmp_lt_f32_e32 vcc, v2, v4
	v_cndmask_b32_e32 v4, v4, v2, vcc
	v_mov_b32_e32 v6, 1
; %bb.139:
	s_or_b64 exec, exec, s[2:3]
	v_mov_b32_e32 v1, v6
	v_pk_mov_b32 v[2:3], v[4:5], v[4:5] op_sel:[0,1]
.LBB12_140:
	s_or_b64 exec, exec, s[0:1]
	v_and_b32_e32 v4, 0xff, v1
	v_mov_b32_dpp v5, v3 quad_perm:[2,3,0,1] row_mask:0xf bank_mask:0xf bound_ctrl:1
	s_nop 0
	v_mov_b32_dpp v6, v4 quad_perm:[2,3,0,1] row_mask:0xf bank_mask:0xf bound_ctrl:1
	v_and_b32_e32 v7, 1, v6
	v_mov_b32_dpp v4, v2 quad_perm:[2,3,0,1] row_mask:0xf bank_mask:0xf bound_ctrl:1
	v_cmp_eq_u32_e32 vcc, 1, v7
	s_and_saveexec_b64 s[0:1], vcc
	s_cbranch_execz .LBB12_144
; %bb.141:
	v_and_b32_e32 v1, 1, v1
	v_cmp_eq_u32_e32 vcc, 1, v1
	s_and_saveexec_b64 s[2:3], vcc
; %bb.142:
	v_cmp_lt_f32_e32 vcc, v5, v3
	v_cndmask_b32_e32 v5, v5, v3, vcc
	v_cmp_lt_f32_e32 vcc, v2, v4
	v_cndmask_b32_e32 v4, v4, v2, vcc
	v_mov_b32_e32 v6, 1
; %bb.143:
	s_or_b64 exec, exec, s[2:3]
	v_mov_b32_e32 v1, v6
	v_pk_mov_b32 v[2:3], v[4:5], v[4:5] op_sel:[0,1]
.LBB12_144:
	s_or_b64 exec, exec, s[0:1]
	v_and_b32_e32 v4, 0xff, v1
	v_mov_b32_dpp v5, v3 row_ror:4 row_mask:0xf bank_mask:0xf bound_ctrl:1
	s_nop 0
	v_mov_b32_dpp v6, v4 row_ror:4 row_mask:0xf bank_mask:0xf bound_ctrl:1
	v_and_b32_e32 v7, 1, v6
	v_mov_b32_dpp v4, v2 row_ror:4 row_mask:0xf bank_mask:0xf bound_ctrl:1
	v_cmp_eq_u32_e32 vcc, 1, v7
	s_and_saveexec_b64 s[0:1], vcc
	s_cbranch_execz .LBB12_148
; %bb.145:
	v_and_b32_e32 v1, 1, v1
	v_cmp_eq_u32_e32 vcc, 1, v1
	s_and_saveexec_b64 s[2:3], vcc
; %bb.146:
	v_cmp_lt_f32_e32 vcc, v5, v3
	v_cndmask_b32_e32 v5, v5, v3, vcc
	v_cmp_lt_f32_e32 vcc, v2, v4
	v_cndmask_b32_e32 v4, v4, v2, vcc
	v_mov_b32_e32 v6, 1
; %bb.147:
	s_or_b64 exec, exec, s[2:3]
	v_mov_b32_e32 v1, v6
	v_pk_mov_b32 v[2:3], v[4:5], v[4:5] op_sel:[0,1]
.LBB12_148:
	s_or_b64 exec, exec, s[0:1]
	v_and_b32_e32 v4, 0xff, v1
	v_mov_b32_dpp v5, v3 row_ror:8 row_mask:0xf bank_mask:0xf bound_ctrl:1
	s_nop 0
	v_mov_b32_dpp v6, v4 row_ror:8 row_mask:0xf bank_mask:0xf bound_ctrl:1
	v_and_b32_e32 v7, 1, v6
	v_mov_b32_dpp v4, v2 row_ror:8 row_mask:0xf bank_mask:0xf bound_ctrl:1
	v_cmp_eq_u32_e32 vcc, 1, v7
	s_and_saveexec_b64 s[0:1], vcc
	s_cbranch_execz .LBB12_152
; %bb.149:
	v_and_b32_e32 v1, 1, v1
	v_cmp_eq_u32_e32 vcc, 1, v1
	s_and_saveexec_b64 s[2:3], vcc
; %bb.150:
	v_cmp_lt_f32_e32 vcc, v5, v3
	v_cndmask_b32_e32 v5, v5, v3, vcc
	v_cmp_lt_f32_e32 vcc, v2, v4
	v_cndmask_b32_e32 v4, v4, v2, vcc
	v_mov_b32_e32 v6, 1
; %bb.151:
	s_or_b64 exec, exec, s[2:3]
	v_mov_b32_e32 v1, v6
	v_pk_mov_b32 v[2:3], v[4:5], v[4:5] op_sel:[0,1]
.LBB12_152:
	s_or_b64 exec, exec, s[0:1]
	v_and_b32_e32 v4, 0xff, v1
	v_mov_b32_dpp v5, v3 row_bcast:15 row_mask:0xf bank_mask:0xf bound_ctrl:1
	s_nop 0
	v_mov_b32_dpp v6, v4 row_bcast:15 row_mask:0xf bank_mask:0xf bound_ctrl:1
	v_and_b32_e32 v7, 1, v6
	v_mov_b32_dpp v4, v2 row_bcast:15 row_mask:0xf bank_mask:0xf bound_ctrl:1
	v_cmp_eq_u32_e32 vcc, 1, v7
	s_and_saveexec_b64 s[0:1], vcc
	s_cbranch_execz .LBB12_156
; %bb.153:
	v_and_b32_e32 v1, 1, v1
	v_cmp_eq_u32_e32 vcc, 1, v1
	s_and_saveexec_b64 s[2:3], vcc
; %bb.154:
	v_cmp_lt_f32_e32 vcc, v5, v3
	v_cndmask_b32_e32 v5, v5, v3, vcc
	v_cmp_lt_f32_e32 vcc, v2, v4
	v_cndmask_b32_e32 v4, v4, v2, vcc
	v_mov_b32_e32 v6, 1
; %bb.155:
	s_or_b64 exec, exec, s[2:3]
	v_mov_b32_e32 v1, v6
	v_pk_mov_b32 v[2:3], v[4:5], v[4:5] op_sel:[0,1]
.LBB12_156:
	s_or_b64 exec, exec, s[0:1]
	v_and_b32_e32 v4, 0xff, v1
	v_mov_b32_dpp v5, v3 row_bcast:31 row_mask:0xf bank_mask:0xf bound_ctrl:1
	s_nop 0
	v_mov_b32_dpp v6, v4 row_bcast:31 row_mask:0xf bank_mask:0xf bound_ctrl:1
	v_and_b32_e32 v7, 1, v6
	v_mov_b32_dpp v4, v2 row_bcast:31 row_mask:0xf bank_mask:0xf bound_ctrl:1
	v_cmp_eq_u32_e32 vcc, 1, v7
	s_and_saveexec_b64 s[0:1], vcc
	s_cbranch_execz .LBB12_160
; %bb.157:
	v_and_b32_e32 v1, 1, v1
	v_cmp_eq_u32_e32 vcc, 1, v1
	s_and_saveexec_b64 s[2:3], vcc
; %bb.158:
	v_cmp_lt_f32_e32 vcc, v5, v3
	v_cndmask_b32_e32 v5, v5, v3, vcc
	v_cmp_lt_f32_e32 vcc, v2, v4
	v_cndmask_b32_e32 v4, v4, v2, vcc
	v_mov_b32_e32 v6, 1
; %bb.159:
	s_or_b64 exec, exec, s[2:3]
	v_mov_b32_e32 v1, v6
	v_pk_mov_b32 v[2:3], v[4:5], v[4:5] op_sel:[0,1]
.LBB12_160:
	s_or_b64 exec, exec, s[0:1]
	v_mbcnt_lo_u32_b32 v4, -1, 0
	v_mbcnt_hi_u32_b32 v6, -1, v4
	v_bfrev_b32_e32 v4, 0.5
	v_and_b32_e32 v1, 0xff, v1
	v_lshl_or_b32 v4, v6, 2, v4
	ds_bpermute_b32 v8, v4, v1
	ds_bpermute_b32 v2, v4, v2
	;; [unrolled: 1-line block ×3, first 2 shown]
	v_cmp_eq_u32_e32 vcc, 0, v6
	s_and_saveexec_b64 s[0:1], vcc
	s_cbranch_execz .LBB12_162
; %bb.161:
	v_lshrrev_b32_e32 v1, 6, v0
	v_mul_u32_u24_e32 v1, 12, v1
	s_waitcnt lgkmcnt(2)
	ds_write_b8 v1, v8 offset:240
	s_waitcnt lgkmcnt(1)
	ds_write2_b32 v1, v2, v3 offset0:61 offset1:62
.LBB12_162:
	s_or_b64 exec, exec, s[0:1]
	v_cmp_gt_u32_e32 vcc, 64, v0
	s_waitcnt lgkmcnt(0)
	s_barrier
	s_and_saveexec_b64 s[0:1], vcc
	s_cbranch_execz .LBB12_172
; %bb.163:
	v_and_b32_e32 v7, 3, v6
	v_mul_u32_u24_e32 v1, 12, v7
	ds_read_u8 v8, v1 offset:240
	ds_read2_b32 v[2:3], v1 offset0:61 offset1:62
	v_cmp_ne_u32_e32 vcc, 3, v7
	v_addc_co_u32_e32 v1, vcc, 0, v6, vcc
	s_waitcnt lgkmcnt(1)
	v_and_b32_e32 v4, 0xff, v8
	v_lshlrev_b32_e32 v5, 2, v1
	ds_bpermute_b32 v1, v5, v4
	s_waitcnt lgkmcnt(1)
	ds_bpermute_b32 v4, v5, v2
	ds_bpermute_b32 v5, v5, v3
	v_and_b32_e32 v9, 1, v8
	v_cmp_eq_u32_e32 vcc, 1, v9
	s_and_saveexec_b64 s[2:3], vcc
	s_cbranch_execz .LBB12_167
; %bb.164:
	s_waitcnt lgkmcnt(2)
	v_and_b32_e32 v1, 1, v1
	v_cmp_eq_u32_e32 vcc, 1, v1
	s_and_saveexec_b64 s[8:9], vcc
	s_cbranch_execz .LBB12_166
; %bb.165:
	s_waitcnt lgkmcnt(0)
	v_cmp_gt_f32_e32 vcc, v5, v3
	v_cndmask_b32_e32 v3, v3, v5, vcc
	v_cmp_gt_f32_e32 vcc, v2, v4
	v_cndmask_b32_e32 v2, v2, v4, vcc
	v_mov_b32_e32 v8, 1
.LBB12_166:
	s_or_b64 exec, exec, s[8:9]
	v_mov_b32_e32 v1, v8
	s_waitcnt lgkmcnt(0)
	v_pk_mov_b32 v[4:5], v[2:3], v[2:3] op_sel:[0,1]
.LBB12_167:
	s_or_b64 exec, exec, s[2:3]
	v_cmp_gt_u32_e32 vcc, 2, v7
	v_cndmask_b32_e64 v3, 0, 1, vcc
	v_lshlrev_b32_e32 v3, 1, v3
	s_waitcnt lgkmcnt(2)
	v_and_b32_e32 v2, 0xff, v1
	v_add_lshl_u32 v3, v3, v6, 2
	ds_bpermute_b32 v6, v3, v2
	s_waitcnt lgkmcnt(2)
	ds_bpermute_b32 v2, v3, v4
	s_waitcnt lgkmcnt(2)
	ds_bpermute_b32 v3, v3, v5
	v_and_b32_e32 v7, 1, v1
	v_cmp_eq_u32_e32 vcc, 1, v7
	s_and_saveexec_b64 s[2:3], vcc
	s_cbranch_execz .LBB12_171
; %bb.168:
	s_waitcnt lgkmcnt(2)
	v_and_b32_e32 v6, 1, v6
	v_cmp_eq_u32_e32 vcc, 1, v6
	s_and_saveexec_b64 s[8:9], vcc
	s_cbranch_execz .LBB12_170
; %bb.169:
	s_waitcnt lgkmcnt(0)
	v_cmp_gt_f32_e32 vcc, v3, v5
	v_cndmask_b32_e32 v5, v5, v3, vcc
	v_cmp_gt_f32_e32 vcc, v4, v2
	v_cndmask_b32_e32 v4, v4, v2, vcc
	v_mov_b32_e32 v1, 1
.LBB12_170:
	s_or_b64 exec, exec, s[8:9]
	v_mov_b32_e32 v6, v1
	s_waitcnt lgkmcnt(0)
	v_pk_mov_b32 v[2:3], v[4:5], v[4:5] op_sel:[0,1]
.LBB12_171:
	s_or_b64 exec, exec, s[2:3]
	s_waitcnt lgkmcnt(2)
	v_and_b32_e32 v8, 0xff, v6
.LBB12_172:
	s_or_b64 exec, exec, s[0:1]
	s_mov_b64 s[0:1], 0
	s_branch .LBB12_223
.LBB12_173:
                                        ; implicit-def: $vgpr4_vgpr5
                                        ; implicit-def: $vgpr1
	s_branch .LBB12_531
.LBB12_174:
	s_mov_b64 s[0:1], -1
                                        ; implicit-def: $vgpr2_vgpr3
                                        ; implicit-def: $vgpr9
.LBB12_175:
	s_and_b64 vcc, exec, s[0:1]
	s_cbranch_vccz .LBB12_375
; %bb.176:
	s_mov_b32 s0, 0
	s_sub_i32 s49, s38, s10
	s_mov_b32 s1, s0
	v_cmp_gt_u32_e32 vcc, s49, v0
	v_mov_b32_e32 v48, 0
	s_waitcnt lgkmcnt(0)
	v_pk_mov_b32 v[2:3], s[0:1], s[0:1] op_sel:[0,1]
	v_mov_b32_e32 v1, 0
	s_and_saveexec_b64 s[2:3], vcc
	s_cbranch_execz .LBB12_178
; %bb.177:
	v_mad_u64_u32 v[4:5], s[8:9], v0, 12, s[42:43]
	global_load_ubyte v1, v[4:5], off
	global_load_dwordx2 v[2:3], v[4:5], off offset:4
.LBB12_178:
	s_or_b64 exec, exec, s[2:3]
	v_or_b32_e32 v4, 0x100, v0
	v_cmp_gt_u32_e64 s[30:31], s49, v4
	v_pk_mov_b32 v[32:33], s[0:1], s[0:1] op_sel:[0,1]
	s_and_saveexec_b64 s[0:1], s[30:31]
	s_cbranch_execz .LBB12_180
; %bb.179:
	v_mad_u64_u32 v[4:5], s[2:3], v0, 12, s[42:43]
	global_load_ubyte v48, v[4:5], off offset:3072
	global_load_dwordx2 v[32:33], v[4:5], off offset:3076
.LBB12_180:
	s_or_b64 exec, exec, s[0:1]
	s_mov_b32 s0, 0
	v_or_b32_e32 v4, 0x200, v0
	s_mov_b32 s1, s0
	v_cmp_gt_u32_e64 s[28:29], s49, v4
	v_mov_b32_e32 v46, 0
	v_pk_mov_b32 v[30:31], s[0:1], s[0:1] op_sel:[0,1]
	v_mov_b32_e32 v47, 0
	s_and_saveexec_b64 s[2:3], s[28:29]
	s_cbranch_execz .LBB12_182
; %bb.181:
	v_mad_u64_u32 v[4:5], s[8:9], v4, 12, s[42:43]
	global_load_ubyte v47, v[4:5], off
	global_load_dwordx2 v[30:31], v[4:5], off offset:4
.LBB12_182:
	s_or_b64 exec, exec, s[2:3]
	v_or_b32_e32 v4, 0x300, v0
	v_cmp_gt_u32_e64 s[26:27], s49, v4
	v_pk_mov_b32 v[28:29], s[0:1], s[0:1] op_sel:[0,1]
	s_and_saveexec_b64 s[0:1], s[26:27]
	s_cbranch_execz .LBB12_184
; %bb.183:
	v_mad_u64_u32 v[4:5], s[2:3], v4, 12, s[42:43]
	global_load_ubyte v46, v[4:5], off
	global_load_dwordx2 v[28:29], v[4:5], off offset:4
.LBB12_184:
	s_or_b64 exec, exec, s[0:1]
	s_mov_b32 s0, 0
	v_or_b32_e32 v4, 0x400, v0
	s_mov_b32 s1, s0
	v_cmp_gt_u32_e64 s[24:25], s49, v4
	v_mov_b32_e32 v44, 0
	v_pk_mov_b32 v[26:27], s[0:1], s[0:1] op_sel:[0,1]
	v_mov_b32_e32 v45, 0
	s_and_saveexec_b64 s[2:3], s[24:25]
	s_cbranch_execz .LBB12_186
; %bb.185:
	v_mad_u64_u32 v[4:5], s[8:9], v4, 12, s[42:43]
	global_load_ubyte v45, v[4:5], off
	global_load_dwordx2 v[26:27], v[4:5], off offset:4
.LBB12_186:
	s_or_b64 exec, exec, s[2:3]
	v_or_b32_e32 v4, 0x500, v0
	v_cmp_gt_u32_e64 s[22:23], s49, v4
	v_pk_mov_b32 v[24:25], s[0:1], s[0:1] op_sel:[0,1]
	s_and_saveexec_b64 s[0:1], s[22:23]
	s_cbranch_execz .LBB12_188
; %bb.187:
	v_mad_u64_u32 v[4:5], s[2:3], v4, 12, s[42:43]
	global_load_ubyte v44, v[4:5], off
	global_load_dwordx2 v[24:25], v[4:5], off offset:4
.LBB12_188:
	s_or_b64 exec, exec, s[0:1]
	s_mov_b32 s0, 0
	v_or_b32_e32 v4, 0x600, v0
	s_mov_b32 s1, s0
	v_cmp_gt_u32_e64 s[20:21], s49, v4
	v_mov_b32_e32 v42, 0
	v_pk_mov_b32 v[22:23], s[0:1], s[0:1] op_sel:[0,1]
	v_mov_b32_e32 v43, 0
	s_and_saveexec_b64 s[2:3], s[20:21]
	s_cbranch_execz .LBB12_190
; %bb.189:
	v_mad_u64_u32 v[4:5], s[8:9], v4, 12, s[42:43]
	global_load_ubyte v43, v[4:5], off
	global_load_dwordx2 v[22:23], v[4:5], off offset:4
.LBB12_190:
	s_or_b64 exec, exec, s[2:3]
	v_or_b32_e32 v4, 0x700, v0
	v_cmp_gt_u32_e64 s[18:19], s49, v4
	v_pk_mov_b32 v[20:21], s[0:1], s[0:1] op_sel:[0,1]
	s_and_saveexec_b64 s[0:1], s[18:19]
	s_cbranch_execz .LBB12_192
; %bb.191:
	v_mad_u64_u32 v[4:5], s[2:3], v4, 12, s[42:43]
	global_load_ubyte v42, v[4:5], off
	global_load_dwordx2 v[20:21], v[4:5], off offset:4
.LBB12_192:
	s_or_b64 exec, exec, s[0:1]
	s_mov_b32 s0, 0
	v_or_b32_e32 v4, 0x800, v0
	s_mov_b32 s1, s0
	v_cmp_gt_u32_e64 s[16:17], s49, v4
	v_mov_b32_e32 v40, 0
	v_pk_mov_b32 v[18:19], s[0:1], s[0:1] op_sel:[0,1]
	v_mov_b32_e32 v41, 0
	s_and_saveexec_b64 s[2:3], s[16:17]
	s_cbranch_execz .LBB12_194
; %bb.193:
	v_mad_u64_u32 v[4:5], s[8:9], v4, 12, s[42:43]
	global_load_ubyte v41, v[4:5], off
	global_load_dwordx2 v[18:19], v[4:5], off offset:4
.LBB12_194:
	s_or_b64 exec, exec, s[2:3]
	v_or_b32_e32 v4, 0x900, v0
	v_cmp_gt_u32_e64 s[14:15], s49, v4
	v_pk_mov_b32 v[16:17], s[0:1], s[0:1] op_sel:[0,1]
	s_and_saveexec_b64 s[0:1], s[14:15]
	s_cbranch_execz .LBB12_196
; %bb.195:
	v_mad_u64_u32 v[4:5], s[2:3], v4, 12, s[42:43]
	global_load_ubyte v40, v[4:5], off
	global_load_dwordx2 v[16:17], v[4:5], off offset:4
.LBB12_196:
	s_or_b64 exec, exec, s[0:1]
	s_mov_b32 s0, 0
	v_or_b32_e32 v4, 0xa00, v0
	s_mov_b32 s1, s0
	v_cmp_gt_u32_e64 s[12:13], s49, v4
	v_mov_b32_e32 v38, 0
	v_pk_mov_b32 v[14:15], s[0:1], s[0:1] op_sel:[0,1]
	v_mov_b32_e32 v39, 0
	s_and_saveexec_b64 s[2:3], s[12:13]
	s_cbranch_execz .LBB12_198
; %bb.197:
	v_mad_u64_u32 v[4:5], s[8:9], v4, 12, s[42:43]
	global_load_ubyte v39, v[4:5], off
	global_load_dwordx2 v[14:15], v[4:5], off offset:4
.LBB12_198:
	s_or_b64 exec, exec, s[2:3]
	v_or_b32_e32 v4, 0xb00, v0
	v_cmp_gt_u32_e64 s[10:11], s49, v4
	v_pk_mov_b32 v[12:13], s[0:1], s[0:1] op_sel:[0,1]
	s_and_saveexec_b64 s[0:1], s[10:11]
	s_cbranch_execz .LBB12_200
; %bb.199:
	v_mad_u64_u32 v[4:5], s[2:3], v4, 12, s[42:43]
	global_load_ubyte v38, v[4:5], off
	global_load_dwordx2 v[12:13], v[4:5], off offset:4
.LBB12_200:
	s_or_b64 exec, exec, s[0:1]
	s_mov_b32 s0, 0
	v_or_b32_e32 v4, 0xc00, v0
	s_mov_b32 s1, s0
	v_cmp_gt_u32_e64 s[8:9], s49, v4
	v_mov_b32_e32 v36, 0
	v_pk_mov_b32 v[10:11], s[0:1], s[0:1] op_sel:[0,1]
	v_mov_b32_e32 v37, 0
	s_and_saveexec_b64 s[2:3], s[8:9]
	s_cbranch_execz .LBB12_202
; %bb.201:
	v_mad_u64_u32 v[4:5], s[44:45], v4, 12, s[42:43]
	global_load_ubyte v37, v[4:5], off
	global_load_dwordx2 v[10:11], v[4:5], off offset:4
.LBB12_202:
	s_or_b64 exec, exec, s[2:3]
	v_or_b32_e32 v4, 0xd00, v0
	v_cmp_gt_u32_e64 s[2:3], s49, v4
	v_pk_mov_b32 v[8:9], s[0:1], s[0:1] op_sel:[0,1]
	s_and_saveexec_b64 s[0:1], s[2:3]
	s_cbranch_execz .LBB12_204
; %bb.203:
	v_mad_u64_u32 v[4:5], s[44:45], v4, 12, s[42:43]
	global_load_ubyte v36, v[4:5], off
	global_load_dwordx2 v[8:9], v[4:5], off offset:4
.LBB12_204:
	s_or_b64 exec, exec, s[0:1]
	s_mov_b32 s44, 0
	v_or_b32_e32 v4, 0xe00, v0
	s_mov_b32 s45, s44
	v_cmp_gt_u32_e64 s[0:1], s49, v4
	v_mov_b32_e32 v34, 0
	v_pk_mov_b32 v[6:7], s[44:45], s[44:45] op_sel:[0,1]
	v_mov_b32_e32 v35, 0
	s_and_saveexec_b64 s[46:47], s[0:1]
	s_cbranch_execz .LBB12_206
; %bb.205:
	v_mad_u64_u32 v[4:5], s[50:51], v4, 12, s[42:43]
	global_load_ubyte v35, v[4:5], off
	global_load_dwordx2 v[6:7], v[4:5], off offset:4
.LBB12_206:
	s_or_b64 exec, exec, s[46:47]
	v_or_b32_e32 v49, 0xf00, v0
	v_cmp_gt_u32_e32 vcc, s49, v49
	v_pk_mov_b32 v[4:5], s[44:45], s[44:45] op_sel:[0,1]
	s_and_saveexec_b64 s[44:45], vcc
	s_cbranch_execnz .LBB12_246
; %bb.207:
	s_or_b64 exec, exec, s[44:45]
	s_and_saveexec_b64 s[42:43], s[30:31]
	s_cbranch_execnz .LBB12_247
.LBB12_208:
	s_or_b64 exec, exec, s[42:43]
	s_and_saveexec_b64 s[30:31], s[28:29]
	s_cbranch_execnz .LBB12_252
.LBB12_209:
	s_or_b64 exec, exec, s[30:31]
	s_and_saveexec_b64 s[28:29], s[26:27]
	s_cbranch_execnz .LBB12_257
.LBB12_210:
	s_or_b64 exec, exec, s[28:29]
	s_and_saveexec_b64 s[26:27], s[24:25]
	s_cbranch_execnz .LBB12_262
.LBB12_211:
	s_or_b64 exec, exec, s[26:27]
	s_and_saveexec_b64 s[24:25], s[22:23]
	s_cbranch_execnz .LBB12_267
.LBB12_212:
	s_or_b64 exec, exec, s[24:25]
	s_and_saveexec_b64 s[22:23], s[20:21]
	s_cbranch_execnz .LBB12_272
.LBB12_213:
	s_or_b64 exec, exec, s[22:23]
	s_and_saveexec_b64 s[20:21], s[18:19]
	s_cbranch_execnz .LBB12_277
.LBB12_214:
	s_or_b64 exec, exec, s[20:21]
	s_and_saveexec_b64 s[18:19], s[16:17]
	s_cbranch_execnz .LBB12_282
.LBB12_215:
	s_or_b64 exec, exec, s[18:19]
	s_and_saveexec_b64 s[16:17], s[14:15]
	s_cbranch_execnz .LBB12_287
.LBB12_216:
	s_or_b64 exec, exec, s[16:17]
	s_and_saveexec_b64 s[14:15], s[12:13]
	s_cbranch_execnz .LBB12_292
.LBB12_217:
	s_or_b64 exec, exec, s[14:15]
	s_and_saveexec_b64 s[12:13], s[10:11]
	s_cbranch_execnz .LBB12_297
.LBB12_218:
	s_or_b64 exec, exec, s[12:13]
	s_and_saveexec_b64 s[10:11], s[8:9]
	s_cbranch_execnz .LBB12_302
.LBB12_219:
	s_or_b64 exec, exec, s[10:11]
	s_and_saveexec_b64 s[8:9], s[2:3]
	s_cbranch_execnz .LBB12_307
.LBB12_220:
	s_or_b64 exec, exec, s[8:9]
	s_and_saveexec_b64 s[2:3], s[0:1]
	s_cbranch_execnz .LBB12_312
.LBB12_221:
	s_or_b64 exec, exec, s[2:3]
	s_and_saveexec_b64 s[0:1], vcc
	s_cbranch_execnz .LBB12_317
	s_branch .LBB12_322
.LBB12_222:
	s_mov_b64 s[0:1], -1
                                        ; implicit-def: $vgpr2_vgpr3
                                        ; implicit-def: $vgpr8
.LBB12_223:
	s_and_b64 vcc, exec, s[0:1]
	s_cbranch_vccz .LBB12_472
; %bb.224:
	s_mov_b32 s0, 0
	s_sub_i32 s24, s38, s10
	s_mov_b32 s1, s0
	v_cmp_gt_u32_e32 vcc, s24, v0
	v_mov_b32_e32 v24, 0
	s_waitcnt lgkmcnt(0)
	v_pk_mov_b32 v[2:3], s[0:1], s[0:1] op_sel:[0,1]
	v_mov_b32_e32 v18, 0
	s_and_saveexec_b64 s[2:3], vcc
	s_cbranch_execz .LBB12_226
; %bb.225:
	v_mad_u64_u32 v[4:5], s[8:9], v0, 12, s[18:19]
	global_load_ubyte v18, v[4:5], off
	global_load_dwordx2 v[2:3], v[4:5], off offset:4
.LBB12_226:
	s_or_b64 exec, exec, s[2:3]
	v_or_b32_e32 v1, 0x100, v0
	v_cmp_gt_u32_e64 s[14:15], s24, v1
	v_pk_mov_b32 v[16:17], s[0:1], s[0:1] op_sel:[0,1]
	s_and_saveexec_b64 s[0:1], s[14:15]
	s_cbranch_execz .LBB12_228
; %bb.227:
	v_mad_u64_u32 v[4:5], s[2:3], v0, 12, s[18:19]
	global_load_ubyte v24, v[4:5], off offset:3072
	global_load_dwordx2 v[16:17], v[4:5], off offset:3076
.LBB12_228:
	s_or_b64 exec, exec, s[0:1]
	s_mov_b32 s0, 0
	v_or_b32_e32 v1, 0x200, v0
	s_mov_b32 s1, s0
	v_cmp_gt_u32_e64 s[12:13], s24, v1
	v_mov_b32_e32 v22, 0
	v_pk_mov_b32 v[14:15], s[0:1], s[0:1] op_sel:[0,1]
	v_mov_b32_e32 v23, 0
	s_and_saveexec_b64 s[2:3], s[12:13]
	s_cbranch_execz .LBB12_230
; %bb.229:
	v_mad_u64_u32 v[4:5], s[8:9], v1, 12, s[18:19]
	global_load_ubyte v23, v[4:5], off
	global_load_dwordx2 v[14:15], v[4:5], off offset:4
.LBB12_230:
	s_or_b64 exec, exec, s[2:3]
	v_or_b32_e32 v1, 0x300, v0
	v_cmp_gt_u32_e64 s[10:11], s24, v1
	v_pk_mov_b32 v[12:13], s[0:1], s[0:1] op_sel:[0,1]
	s_and_saveexec_b64 s[0:1], s[10:11]
	s_cbranch_execz .LBB12_232
; %bb.231:
	v_mad_u64_u32 v[4:5], s[2:3], v1, 12, s[18:19]
	global_load_ubyte v22, v[4:5], off
	global_load_dwordx2 v[12:13], v[4:5], off offset:4
.LBB12_232:
	s_or_b64 exec, exec, s[0:1]
	s_mov_b32 s0, 0
	v_or_b32_e32 v1, 0x400, v0
	s_mov_b32 s1, s0
	v_cmp_gt_u32_e64 s[8:9], s24, v1
	v_mov_b32_e32 v20, 0
	v_pk_mov_b32 v[10:11], s[0:1], s[0:1] op_sel:[0,1]
	v_mov_b32_e32 v21, 0
	s_and_saveexec_b64 s[2:3], s[8:9]
	s_cbranch_execz .LBB12_234
; %bb.233:
	v_mad_u64_u32 v[4:5], s[20:21], v1, 12, s[18:19]
	global_load_ubyte v21, v[4:5], off
	global_load_dwordx2 v[10:11], v[4:5], off offset:4
.LBB12_234:
	s_or_b64 exec, exec, s[2:3]
	v_or_b32_e32 v1, 0x500, v0
	v_cmp_gt_u32_e64 s[2:3], s24, v1
	v_pk_mov_b32 v[8:9], s[0:1], s[0:1] op_sel:[0,1]
	s_and_saveexec_b64 s[0:1], s[2:3]
	s_cbranch_execz .LBB12_236
; %bb.235:
	v_mad_u64_u32 v[4:5], s[20:21], v1, 12, s[18:19]
	global_load_ubyte v20, v[4:5], off
	global_load_dwordx2 v[8:9], v[4:5], off offset:4
.LBB12_236:
	s_or_b64 exec, exec, s[0:1]
	s_mov_b32 s20, 0
	v_or_b32_e32 v4, 0x600, v0
	s_mov_b32 s21, s20
	v_cmp_gt_u32_e64 s[0:1], s24, v4
	v_mov_b32_e32 v1, 0
	v_pk_mov_b32 v[6:7], s[20:21], s[20:21] op_sel:[0,1]
	v_mov_b32_e32 v19, 0
	s_and_saveexec_b64 s[22:23], s[0:1]
	s_cbranch_execz .LBB12_238
; %bb.237:
	v_mad_u64_u32 v[4:5], s[26:27], v4, 12, s[18:19]
	global_load_ubyte v19, v[4:5], off
	global_load_dwordx2 v[6:7], v[4:5], off offset:4
.LBB12_238:
	s_or_b64 exec, exec, s[22:23]
	v_or_b32_e32 v25, 0x700, v0
	v_cmp_gt_u32_e32 vcc, s24, v25
	v_pk_mov_b32 v[4:5], s[20:21], s[20:21] op_sel:[0,1]
	s_and_saveexec_b64 s[20:21], vcc
	s_cbranch_execnz .LBB12_383
; %bb.239:
	s_or_b64 exec, exec, s[20:21]
	s_and_saveexec_b64 s[18:19], s[14:15]
	s_cbranch_execnz .LBB12_384
.LBB12_240:
	s_or_b64 exec, exec, s[18:19]
	s_and_saveexec_b64 s[14:15], s[12:13]
	s_cbranch_execnz .LBB12_389
.LBB12_241:
	s_or_b64 exec, exec, s[14:15]
	s_and_saveexec_b64 s[12:13], s[10:11]
	s_cbranch_execnz .LBB12_394
.LBB12_242:
	s_or_b64 exec, exec, s[12:13]
	s_and_saveexec_b64 s[10:11], s[8:9]
	s_cbranch_execnz .LBB12_399
.LBB12_243:
	s_or_b64 exec, exec, s[10:11]
	s_and_saveexec_b64 s[8:9], s[2:3]
	s_cbranch_execnz .LBB12_404
.LBB12_244:
	s_or_b64 exec, exec, s[8:9]
	s_and_saveexec_b64 s[2:3], s[0:1]
	s_cbranch_execnz .LBB12_409
.LBB12_245:
	s_or_b64 exec, exec, s[2:3]
	s_and_saveexec_b64 s[0:1], vcc
	s_cbranch_execnz .LBB12_414
	s_branch .LBB12_419
.LBB12_246:
	v_mad_u64_u32 v[50:51], s[42:43], v49, 12, s[42:43]
	global_load_ubyte v34, v[50:51], off
	global_load_dwordx2 v[4:5], v[50:51], off offset:4
	s_or_b64 exec, exec, s[44:45]
	s_and_saveexec_b64 s[42:43], s[30:31]
	s_cbranch_execz .LBB12_208
.LBB12_247:
	s_waitcnt vmcnt(1)
	v_and_b32_e32 v49, 1, v1
	v_cmp_eq_u32_e64 s[30:31], 1, v49
	s_and_saveexec_b64 s[44:45], s[30:31]
	s_cbranch_execz .LBB12_251
; %bb.248:
	v_and_b32_e32 v48, 1, v48
	v_cmp_eq_u32_e64 s[30:31], 1, v48
	s_and_saveexec_b64 s[46:47], s[30:31]
	s_cbranch_execz .LBB12_250
; %bb.249:
	s_waitcnt vmcnt(0)
	v_cmp_lt_f32_e64 s[30:31], v3, v33
	v_cndmask_b32_e64 v3, v3, v33, s[30:31]
	v_cmp_lt_f32_e64 s[30:31], v32, v2
	v_cndmask_b32_e64 v2, v2, v32, s[30:31]
	v_mov_b32_e32 v1, 1
.LBB12_250:
	s_or_b64 exec, exec, s[46:47]
	s_waitcnt vmcnt(0)
	v_pk_mov_b32 v[32:33], v[2:3], v[2:3] op_sel:[0,1]
	v_mov_b32_e32 v48, v1
.LBB12_251:
	s_or_b64 exec, exec, s[44:45]
	v_mov_b32_e32 v1, v48
	s_waitcnt vmcnt(0)
	v_pk_mov_b32 v[2:3], v[32:33], v[32:33] op_sel:[0,1]
	s_or_b64 exec, exec, s[42:43]
	s_and_saveexec_b64 s[30:31], s[28:29]
	s_cbranch_execz .LBB12_209
.LBB12_252:
	s_waitcnt vmcnt(0)
	v_and_b32_e32 v32, 1, v1
	v_cmp_eq_u32_e64 s[28:29], 1, v32
	s_and_saveexec_b64 s[42:43], s[28:29]
	s_cbranch_execz .LBB12_256
; %bb.253:
	v_and_b32_e32 v32, 1, v47
	v_cmp_eq_u32_e64 s[28:29], 1, v32
	s_and_saveexec_b64 s[44:45], s[28:29]
; %bb.254:
	v_cmp_lt_f32_e64 s[28:29], v3, v31
	v_cndmask_b32_e64 v3, v3, v31, s[28:29]
	v_cmp_lt_f32_e64 s[28:29], v30, v2
	v_cndmask_b32_e64 v2, v2, v30, s[28:29]
	v_mov_b32_e32 v1, 1
; %bb.255:
	s_or_b64 exec, exec, s[44:45]
	v_pk_mov_b32 v[30:31], v[2:3], v[2:3] op_sel:[0,1]
	v_mov_b32_e32 v47, v1
.LBB12_256:
	s_or_b64 exec, exec, s[42:43]
	v_mov_b32_e32 v1, v47
	v_pk_mov_b32 v[2:3], v[30:31], v[30:31] op_sel:[0,1]
	s_or_b64 exec, exec, s[30:31]
	s_and_saveexec_b64 s[28:29], s[26:27]
	s_cbranch_execz .LBB12_210
.LBB12_257:
	s_waitcnt vmcnt(0)
	v_and_b32_e32 v30, 1, v1
	v_cmp_eq_u32_e64 s[26:27], 1, v30
	s_and_saveexec_b64 s[30:31], s[26:27]
	s_cbranch_execz .LBB12_261
; %bb.258:
	v_and_b32_e32 v30, 1, v46
	v_cmp_eq_u32_e64 s[26:27], 1, v30
	s_and_saveexec_b64 s[42:43], s[26:27]
; %bb.259:
	v_cmp_lt_f32_e64 s[26:27], v3, v29
	v_cndmask_b32_e64 v3, v3, v29, s[26:27]
	v_cmp_lt_f32_e64 s[26:27], v28, v2
	v_cndmask_b32_e64 v2, v2, v28, s[26:27]
	v_mov_b32_e32 v1, 1
; %bb.260:
	s_or_b64 exec, exec, s[42:43]
	v_pk_mov_b32 v[28:29], v[2:3], v[2:3] op_sel:[0,1]
	v_mov_b32_e32 v46, v1
.LBB12_261:
	s_or_b64 exec, exec, s[30:31]
	v_mov_b32_e32 v1, v46
	v_pk_mov_b32 v[2:3], v[28:29], v[28:29] op_sel:[0,1]
	s_or_b64 exec, exec, s[28:29]
	s_and_saveexec_b64 s[26:27], s[24:25]
	s_cbranch_execz .LBB12_211
.LBB12_262:
	s_waitcnt vmcnt(0)
	v_and_b32_e32 v28, 1, v1
	v_cmp_eq_u32_e64 s[24:25], 1, v28
	s_and_saveexec_b64 s[28:29], s[24:25]
	s_cbranch_execz .LBB12_266
; %bb.263:
	v_and_b32_e32 v28, 1, v45
	v_cmp_eq_u32_e64 s[24:25], 1, v28
	s_and_saveexec_b64 s[30:31], s[24:25]
; %bb.264:
	v_cmp_lt_f32_e64 s[24:25], v3, v27
	v_cndmask_b32_e64 v3, v3, v27, s[24:25]
	v_cmp_lt_f32_e64 s[24:25], v26, v2
	v_cndmask_b32_e64 v2, v2, v26, s[24:25]
	v_mov_b32_e32 v1, 1
; %bb.265:
	s_or_b64 exec, exec, s[30:31]
	v_pk_mov_b32 v[26:27], v[2:3], v[2:3] op_sel:[0,1]
	v_mov_b32_e32 v45, v1
.LBB12_266:
	s_or_b64 exec, exec, s[28:29]
	v_mov_b32_e32 v1, v45
	v_pk_mov_b32 v[2:3], v[26:27], v[26:27] op_sel:[0,1]
	s_or_b64 exec, exec, s[26:27]
	s_and_saveexec_b64 s[24:25], s[22:23]
	s_cbranch_execz .LBB12_212
.LBB12_267:
	s_waitcnt vmcnt(0)
	v_and_b32_e32 v26, 1, v1
	v_cmp_eq_u32_e64 s[22:23], 1, v26
	s_and_saveexec_b64 s[26:27], s[22:23]
	s_cbranch_execz .LBB12_271
; %bb.268:
	v_and_b32_e32 v26, 1, v44
	v_cmp_eq_u32_e64 s[22:23], 1, v26
	s_and_saveexec_b64 s[28:29], s[22:23]
; %bb.269:
	v_cmp_lt_f32_e64 s[22:23], v3, v25
	v_cndmask_b32_e64 v3, v3, v25, s[22:23]
	v_cmp_lt_f32_e64 s[22:23], v24, v2
	v_cndmask_b32_e64 v2, v2, v24, s[22:23]
	v_mov_b32_e32 v1, 1
; %bb.270:
	s_or_b64 exec, exec, s[28:29]
	v_pk_mov_b32 v[24:25], v[2:3], v[2:3] op_sel:[0,1]
	v_mov_b32_e32 v44, v1
.LBB12_271:
	s_or_b64 exec, exec, s[26:27]
	v_mov_b32_e32 v1, v44
	v_pk_mov_b32 v[2:3], v[24:25], v[24:25] op_sel:[0,1]
	s_or_b64 exec, exec, s[24:25]
	s_and_saveexec_b64 s[22:23], s[20:21]
	s_cbranch_execz .LBB12_213
.LBB12_272:
	s_waitcnt vmcnt(0)
	v_and_b32_e32 v24, 1, v1
	v_cmp_eq_u32_e64 s[20:21], 1, v24
	s_and_saveexec_b64 s[24:25], s[20:21]
	s_cbranch_execz .LBB12_276
; %bb.273:
	v_and_b32_e32 v24, 1, v43
	v_cmp_eq_u32_e64 s[20:21], 1, v24
	s_and_saveexec_b64 s[26:27], s[20:21]
; %bb.274:
	v_cmp_lt_f32_e64 s[20:21], v3, v23
	v_cndmask_b32_e64 v3, v3, v23, s[20:21]
	v_cmp_lt_f32_e64 s[20:21], v22, v2
	v_cndmask_b32_e64 v2, v2, v22, s[20:21]
	v_mov_b32_e32 v1, 1
; %bb.275:
	s_or_b64 exec, exec, s[26:27]
	v_pk_mov_b32 v[22:23], v[2:3], v[2:3] op_sel:[0,1]
	v_mov_b32_e32 v43, v1
.LBB12_276:
	s_or_b64 exec, exec, s[24:25]
	v_mov_b32_e32 v1, v43
	v_pk_mov_b32 v[2:3], v[22:23], v[22:23] op_sel:[0,1]
	s_or_b64 exec, exec, s[22:23]
	s_and_saveexec_b64 s[20:21], s[18:19]
	s_cbranch_execz .LBB12_214
.LBB12_277:
	s_waitcnt vmcnt(0)
	v_and_b32_e32 v22, 1, v1
	v_cmp_eq_u32_e64 s[18:19], 1, v22
	s_and_saveexec_b64 s[22:23], s[18:19]
	s_cbranch_execz .LBB12_281
; %bb.278:
	v_and_b32_e32 v22, 1, v42
	v_cmp_eq_u32_e64 s[18:19], 1, v22
	s_and_saveexec_b64 s[24:25], s[18:19]
; %bb.279:
	v_cmp_lt_f32_e64 s[18:19], v3, v21
	v_cndmask_b32_e64 v3, v3, v21, s[18:19]
	v_cmp_lt_f32_e64 s[18:19], v20, v2
	v_cndmask_b32_e64 v2, v2, v20, s[18:19]
	v_mov_b32_e32 v1, 1
; %bb.280:
	s_or_b64 exec, exec, s[24:25]
	v_pk_mov_b32 v[20:21], v[2:3], v[2:3] op_sel:[0,1]
	v_mov_b32_e32 v42, v1
.LBB12_281:
	s_or_b64 exec, exec, s[22:23]
	v_mov_b32_e32 v1, v42
	v_pk_mov_b32 v[2:3], v[20:21], v[20:21] op_sel:[0,1]
	s_or_b64 exec, exec, s[20:21]
	s_and_saveexec_b64 s[18:19], s[16:17]
	s_cbranch_execz .LBB12_215
.LBB12_282:
	s_waitcnt vmcnt(0)
	v_and_b32_e32 v20, 1, v1
	v_cmp_eq_u32_e64 s[16:17], 1, v20
	s_and_saveexec_b64 s[20:21], s[16:17]
	s_cbranch_execz .LBB12_286
; %bb.283:
	v_and_b32_e32 v20, 1, v41
	v_cmp_eq_u32_e64 s[16:17], 1, v20
	s_and_saveexec_b64 s[22:23], s[16:17]
; %bb.284:
	v_cmp_lt_f32_e64 s[16:17], v3, v19
	v_cndmask_b32_e64 v3, v3, v19, s[16:17]
	v_cmp_lt_f32_e64 s[16:17], v18, v2
	v_cndmask_b32_e64 v2, v2, v18, s[16:17]
	v_mov_b32_e32 v1, 1
; %bb.285:
	s_or_b64 exec, exec, s[22:23]
	v_pk_mov_b32 v[18:19], v[2:3], v[2:3] op_sel:[0,1]
	v_mov_b32_e32 v41, v1
.LBB12_286:
	s_or_b64 exec, exec, s[20:21]
	v_mov_b32_e32 v1, v41
	v_pk_mov_b32 v[2:3], v[18:19], v[18:19] op_sel:[0,1]
	s_or_b64 exec, exec, s[18:19]
	s_and_saveexec_b64 s[16:17], s[14:15]
	s_cbranch_execz .LBB12_216
.LBB12_287:
	s_waitcnt vmcnt(0)
	v_and_b32_e32 v18, 1, v1
	v_cmp_eq_u32_e64 s[14:15], 1, v18
	s_and_saveexec_b64 s[18:19], s[14:15]
	s_cbranch_execz .LBB12_291
; %bb.288:
	v_and_b32_e32 v18, 1, v40
	v_cmp_eq_u32_e64 s[14:15], 1, v18
	s_and_saveexec_b64 s[20:21], s[14:15]
; %bb.289:
	v_cmp_lt_f32_e64 s[14:15], v3, v17
	v_cndmask_b32_e64 v3, v3, v17, s[14:15]
	v_cmp_lt_f32_e64 s[14:15], v16, v2
	v_cndmask_b32_e64 v2, v2, v16, s[14:15]
	v_mov_b32_e32 v1, 1
; %bb.290:
	s_or_b64 exec, exec, s[20:21]
	v_pk_mov_b32 v[16:17], v[2:3], v[2:3] op_sel:[0,1]
	v_mov_b32_e32 v40, v1
.LBB12_291:
	s_or_b64 exec, exec, s[18:19]
	v_mov_b32_e32 v1, v40
	v_pk_mov_b32 v[2:3], v[16:17], v[16:17] op_sel:[0,1]
	s_or_b64 exec, exec, s[16:17]
	s_and_saveexec_b64 s[14:15], s[12:13]
	s_cbranch_execz .LBB12_217
.LBB12_292:
	s_waitcnt vmcnt(0)
	v_and_b32_e32 v16, 1, v1
	v_cmp_eq_u32_e64 s[12:13], 1, v16
	s_and_saveexec_b64 s[16:17], s[12:13]
	s_cbranch_execz .LBB12_296
; %bb.293:
	v_and_b32_e32 v16, 1, v39
	v_cmp_eq_u32_e64 s[12:13], 1, v16
	s_and_saveexec_b64 s[18:19], s[12:13]
; %bb.294:
	v_cmp_lt_f32_e64 s[12:13], v3, v15
	v_cndmask_b32_e64 v3, v3, v15, s[12:13]
	v_cmp_lt_f32_e64 s[12:13], v14, v2
	v_cndmask_b32_e64 v2, v2, v14, s[12:13]
	v_mov_b32_e32 v1, 1
; %bb.295:
	s_or_b64 exec, exec, s[18:19]
	v_pk_mov_b32 v[14:15], v[2:3], v[2:3] op_sel:[0,1]
	v_mov_b32_e32 v39, v1
.LBB12_296:
	s_or_b64 exec, exec, s[16:17]
	v_mov_b32_e32 v1, v39
	v_pk_mov_b32 v[2:3], v[14:15], v[14:15] op_sel:[0,1]
	s_or_b64 exec, exec, s[14:15]
	s_and_saveexec_b64 s[12:13], s[10:11]
	s_cbranch_execz .LBB12_218
.LBB12_297:
	s_waitcnt vmcnt(0)
	v_and_b32_e32 v14, 1, v1
	v_cmp_eq_u32_e64 s[10:11], 1, v14
	s_and_saveexec_b64 s[14:15], s[10:11]
	s_cbranch_execz .LBB12_301
; %bb.298:
	v_and_b32_e32 v14, 1, v38
	v_cmp_eq_u32_e64 s[10:11], 1, v14
	s_and_saveexec_b64 s[16:17], s[10:11]
; %bb.299:
	v_cmp_lt_f32_e64 s[10:11], v3, v13
	v_cndmask_b32_e64 v3, v3, v13, s[10:11]
	v_cmp_lt_f32_e64 s[10:11], v12, v2
	v_cndmask_b32_e64 v2, v2, v12, s[10:11]
	v_mov_b32_e32 v1, 1
; %bb.300:
	s_or_b64 exec, exec, s[16:17]
	v_pk_mov_b32 v[12:13], v[2:3], v[2:3] op_sel:[0,1]
	v_mov_b32_e32 v38, v1
.LBB12_301:
	s_or_b64 exec, exec, s[14:15]
	v_mov_b32_e32 v1, v38
	v_pk_mov_b32 v[2:3], v[12:13], v[12:13] op_sel:[0,1]
	s_or_b64 exec, exec, s[12:13]
	s_and_saveexec_b64 s[10:11], s[8:9]
	s_cbranch_execz .LBB12_219
.LBB12_302:
	s_waitcnt vmcnt(0)
	v_and_b32_e32 v12, 1, v1
	v_cmp_eq_u32_e64 s[8:9], 1, v12
	s_and_saveexec_b64 s[12:13], s[8:9]
	s_cbranch_execz .LBB12_306
; %bb.303:
	v_and_b32_e32 v12, 1, v37
	v_cmp_eq_u32_e64 s[8:9], 1, v12
	s_and_saveexec_b64 s[14:15], s[8:9]
; %bb.304:
	v_cmp_lt_f32_e64 s[8:9], v3, v11
	v_cndmask_b32_e64 v3, v3, v11, s[8:9]
	v_cmp_lt_f32_e64 s[8:9], v10, v2
	v_cndmask_b32_e64 v2, v2, v10, s[8:9]
	v_mov_b32_e32 v1, 1
; %bb.305:
	s_or_b64 exec, exec, s[14:15]
	v_pk_mov_b32 v[10:11], v[2:3], v[2:3] op_sel:[0,1]
	v_mov_b32_e32 v37, v1
.LBB12_306:
	s_or_b64 exec, exec, s[12:13]
	v_mov_b32_e32 v1, v37
	v_pk_mov_b32 v[2:3], v[10:11], v[10:11] op_sel:[0,1]
	s_or_b64 exec, exec, s[10:11]
	s_and_saveexec_b64 s[8:9], s[2:3]
	s_cbranch_execz .LBB12_220
.LBB12_307:
	s_waitcnt vmcnt(0)
	v_and_b32_e32 v10, 1, v1
	v_cmp_eq_u32_e64 s[2:3], 1, v10
	s_and_saveexec_b64 s[10:11], s[2:3]
	s_cbranch_execz .LBB12_311
; %bb.308:
	v_and_b32_e32 v10, 1, v36
	v_cmp_eq_u32_e64 s[2:3], 1, v10
	s_and_saveexec_b64 s[12:13], s[2:3]
; %bb.309:
	v_cmp_lt_f32_e64 s[2:3], v3, v9
	v_cndmask_b32_e64 v3, v3, v9, s[2:3]
	v_cmp_lt_f32_e64 s[2:3], v8, v2
	v_cndmask_b32_e64 v2, v2, v8, s[2:3]
	v_mov_b32_e32 v1, 1
; %bb.310:
	s_or_b64 exec, exec, s[12:13]
	v_pk_mov_b32 v[8:9], v[2:3], v[2:3] op_sel:[0,1]
	v_mov_b32_e32 v36, v1
.LBB12_311:
	s_or_b64 exec, exec, s[10:11]
	v_mov_b32_e32 v1, v36
	v_pk_mov_b32 v[2:3], v[8:9], v[8:9] op_sel:[0,1]
	s_or_b64 exec, exec, s[8:9]
	s_and_saveexec_b64 s[2:3], s[0:1]
	s_cbranch_execz .LBB12_221
.LBB12_312:
	s_waitcnt vmcnt(0)
	v_and_b32_e32 v8, 1, v1
	v_cmp_eq_u32_e64 s[0:1], 1, v8
	s_and_saveexec_b64 s[8:9], s[0:1]
	s_cbranch_execz .LBB12_316
; %bb.313:
	v_and_b32_e32 v8, 1, v35
	v_cmp_eq_u32_e64 s[0:1], 1, v8
	s_and_saveexec_b64 s[10:11], s[0:1]
; %bb.314:
	v_cmp_lt_f32_e64 s[0:1], v3, v7
	v_cndmask_b32_e64 v3, v3, v7, s[0:1]
	v_cmp_lt_f32_e64 s[0:1], v6, v2
	v_cndmask_b32_e64 v2, v2, v6, s[0:1]
	v_mov_b32_e32 v1, 1
; %bb.315:
	s_or_b64 exec, exec, s[10:11]
	v_pk_mov_b32 v[6:7], v[2:3], v[2:3] op_sel:[0,1]
	v_mov_b32_e32 v35, v1
.LBB12_316:
	s_or_b64 exec, exec, s[8:9]
	v_mov_b32_e32 v1, v35
	v_pk_mov_b32 v[2:3], v[6:7], v[6:7] op_sel:[0,1]
	s_or_b64 exec, exec, s[2:3]
	s_and_saveexec_b64 s[0:1], vcc
	s_cbranch_execz .LBB12_322
.LBB12_317:
	s_waitcnt vmcnt(0)
	v_and_b32_e32 v6, 1, v1
	v_cmp_eq_u32_e32 vcc, 1, v6
	s_and_saveexec_b64 s[2:3], vcc
	s_cbranch_execz .LBB12_321
; %bb.318:
	v_and_b32_e32 v6, 1, v34
	v_cmp_eq_u32_e32 vcc, 1, v6
	s_and_saveexec_b64 s[8:9], vcc
; %bb.319:
	v_cmp_lt_f32_e32 vcc, v3, v5
	v_cndmask_b32_e32 v3, v3, v5, vcc
	v_cmp_lt_f32_e32 vcc, v4, v2
	v_cndmask_b32_e32 v2, v2, v4, vcc
	v_mov_b32_e32 v1, 1
; %bb.320:
	s_or_b64 exec, exec, s[8:9]
	v_pk_mov_b32 v[4:5], v[2:3], v[2:3] op_sel:[0,1]
	v_mov_b32_e32 v34, v1
.LBB12_321:
	s_or_b64 exec, exec, s[2:3]
	v_mov_b32_e32 v1, v34
	v_pk_mov_b32 v[2:3], v[4:5], v[4:5] op_sel:[0,1]
.LBB12_322:
	s_or_b64 exec, exec, s[0:1]
	s_waitcnt vmcnt(0)
	v_mbcnt_lo_u32_b32 v4, -1, 0
	v_mbcnt_hi_u32_b32 v6, -1, v4
	v_and_b32_e32 v8, 63, v6
	s_min_u32 s10, s49, 0x100
	v_and_b32_e32 v4, 0xc0, v0
	v_cmp_ne_u32_e32 vcc, 63, v8
	v_sub_u32_e64 v7, s10, v4 clamp
	v_addc_co_u32_e32 v4, vcc, 0, v6, vcc
	v_and_b32_e32 v10, 0xff, v1
	v_lshlrev_b32_e32 v5, 2, v4
	ds_bpermute_b32 v13, v5, v10
	ds_bpermute_b32 v4, v5, v2
	;; [unrolled: 1-line block ×3, first 2 shown]
	v_add_u32_e32 v9, 1, v8
	v_cmp_lt_u32_e32 vcc, v9, v7
	v_mov_b32_e32 v9, v10
	v_mov_b32_e32 v11, v2
	;; [unrolled: 1-line block ×3, first 2 shown]
	s_and_saveexec_b64 s[0:1], vcc
	s_xor_b64 s[0:1], exec, s[0:1]
	s_cbranch_execz .LBB12_328
; %bb.323:
	v_and_b32_e32 v1, 1, v1
	v_cmp_eq_u32_e32 vcc, 1, v1
	s_and_saveexec_b64 s[2:3], vcc
	s_cbranch_execz .LBB12_327
; %bb.324:
	s_waitcnt lgkmcnt(2)
	v_and_b32_e32 v1, 1, v13
	v_cmp_eq_u32_e32 vcc, 1, v1
	s_and_saveexec_b64 s[8:9], vcc
	s_cbranch_execz .LBB12_326
; %bb.325:
	s_waitcnt lgkmcnt(0)
	v_cmp_lt_f32_e32 vcc, v3, v5
	v_cndmask_b32_e32 v3, v3, v5, vcc
	v_cmp_gt_f32_e32 vcc, v2, v4
	v_cndmask_b32_e32 v2, v2, v4, vcc
	v_mov_b32_e32 v10, 1
.LBB12_326:
	s_or_b64 exec, exec, s[8:9]
	v_mov_b32_e32 v13, v10
	s_waitcnt lgkmcnt(0)
	v_pk_mov_b32 v[4:5], v[2:3], v[2:3] op_sel:[0,1]
.LBB12_327:
	s_or_b64 exec, exec, s[2:3]
	s_waitcnt lgkmcnt(2)
	v_and_b32_e32 v9, 0xff, v13
	s_waitcnt lgkmcnt(0)
	v_pk_mov_b32 v[2:3], v[4:5], v[4:5] op_sel:[0,1]
	v_mov_b32_e32 v10, v13
	v_mov_b32_e32 v11, v4
	;; [unrolled: 1-line block ×3, first 2 shown]
.LBB12_328:
	s_or_b64 exec, exec, s[0:1]
	v_cmp_gt_u32_e32 vcc, 62, v8
	v_cndmask_b32_e64 v1, 0, 1, vcc
	v_lshlrev_b32_e32 v1, 1, v1
	s_waitcnt lgkmcnt(0)
	v_add_lshl_u32 v5, v1, v6, 2
	ds_bpermute_b32 v1, v5, v9
	ds_bpermute_b32 v4, v5, v11
	;; [unrolled: 1-line block ×3, first 2 shown]
	v_add_u32_e32 v13, 2, v8
	v_cmp_lt_u32_e32 vcc, v13, v7
	s_and_saveexec_b64 s[0:1], vcc
	s_cbranch_execz .LBB12_334
; %bb.329:
	v_and_b32_e32 v9, 1, v10
	v_cmp_eq_u32_e32 vcc, 1, v9
	s_and_saveexec_b64 s[2:3], vcc
	s_cbranch_execz .LBB12_333
; %bb.330:
	s_waitcnt lgkmcnt(2)
	v_and_b32_e32 v1, 1, v1
	v_cmp_eq_u32_e32 vcc, 1, v1
	s_and_saveexec_b64 s[8:9], vcc
	s_cbranch_execz .LBB12_332
; %bb.331:
	s_waitcnt lgkmcnt(0)
	v_cmp_lt_f32_e32 vcc, v3, v5
	v_cndmask_b32_e32 v3, v3, v5, vcc
	v_cmp_lt_f32_e32 vcc, v4, v2
	v_cndmask_b32_e32 v2, v2, v4, vcc
	v_mov_b32_e32 v10, 1
.LBB12_332:
	s_or_b64 exec, exec, s[8:9]
	v_mov_b32_e32 v1, v10
	s_waitcnt lgkmcnt(0)
	v_pk_mov_b32 v[4:5], v[2:3], v[2:3] op_sel:[0,1]
.LBB12_333:
	s_or_b64 exec, exec, s[2:3]
	s_waitcnt lgkmcnt(2)
	v_and_b32_e32 v9, 0xff, v1
	s_waitcnt lgkmcnt(0)
	v_pk_mov_b32 v[2:3], v[4:5], v[4:5] op_sel:[0,1]
	v_mov_b32_e32 v10, v1
	v_mov_b32_e32 v11, v4
	;; [unrolled: 1-line block ×3, first 2 shown]
.LBB12_334:
	s_or_b64 exec, exec, s[0:1]
	v_cmp_gt_u32_e32 vcc, 60, v8
	s_waitcnt lgkmcnt(2)
	v_cndmask_b32_e64 v1, 0, 1, vcc
	v_lshlrev_b32_e32 v1, 2, v1
	s_waitcnt lgkmcnt(0)
	v_add_lshl_u32 v5, v1, v6, 2
	ds_bpermute_b32 v1, v5, v9
	ds_bpermute_b32 v4, v5, v11
	;; [unrolled: 1-line block ×3, first 2 shown]
	v_add_u32_e32 v13, 4, v8
	v_cmp_lt_u32_e32 vcc, v13, v7
	s_and_saveexec_b64 s[0:1], vcc
	s_cbranch_execz .LBB12_340
; %bb.335:
	v_and_b32_e32 v9, 1, v10
	v_cmp_eq_u32_e32 vcc, 1, v9
	s_and_saveexec_b64 s[2:3], vcc
	s_cbranch_execz .LBB12_339
; %bb.336:
	s_waitcnt lgkmcnt(2)
	v_and_b32_e32 v1, 1, v1
	v_cmp_eq_u32_e32 vcc, 1, v1
	s_and_saveexec_b64 s[8:9], vcc
	s_cbranch_execz .LBB12_338
; %bb.337:
	s_waitcnt lgkmcnt(0)
	v_cmp_lt_f32_e32 vcc, v3, v5
	v_cndmask_b32_e32 v3, v3, v5, vcc
	v_cmp_lt_f32_e32 vcc, v4, v2
	v_cndmask_b32_e32 v2, v2, v4, vcc
	v_mov_b32_e32 v10, 1
.LBB12_338:
	s_or_b64 exec, exec, s[8:9]
	v_mov_b32_e32 v1, v10
	s_waitcnt lgkmcnt(0)
	v_pk_mov_b32 v[4:5], v[2:3], v[2:3] op_sel:[0,1]
.LBB12_339:
	s_or_b64 exec, exec, s[2:3]
	s_waitcnt lgkmcnt(2)
	v_and_b32_e32 v9, 0xff, v1
	s_waitcnt lgkmcnt(0)
	v_pk_mov_b32 v[2:3], v[4:5], v[4:5] op_sel:[0,1]
	v_mov_b32_e32 v10, v1
	v_mov_b32_e32 v11, v4
	;; [unrolled: 1-line block ×3, first 2 shown]
.LBB12_340:
	s_or_b64 exec, exec, s[0:1]
	v_cmp_gt_u32_e32 vcc, 56, v8
	s_waitcnt lgkmcnt(2)
	v_cndmask_b32_e64 v1, 0, 1, vcc
	v_lshlrev_b32_e32 v1, 3, v1
	s_waitcnt lgkmcnt(0)
	v_add_lshl_u32 v5, v1, v6, 2
	ds_bpermute_b32 v1, v5, v9
	ds_bpermute_b32 v4, v5, v11
	;; [unrolled: 1-line block ×3, first 2 shown]
	v_add_u32_e32 v13, 8, v8
	v_cmp_lt_u32_e32 vcc, v13, v7
	s_and_saveexec_b64 s[0:1], vcc
	s_cbranch_execz .LBB12_346
; %bb.341:
	v_and_b32_e32 v9, 1, v10
	v_cmp_eq_u32_e32 vcc, 1, v9
	s_and_saveexec_b64 s[2:3], vcc
	s_cbranch_execz .LBB12_345
; %bb.342:
	s_waitcnt lgkmcnt(2)
	v_and_b32_e32 v1, 1, v1
	v_cmp_eq_u32_e32 vcc, 1, v1
	s_and_saveexec_b64 s[8:9], vcc
	s_cbranch_execz .LBB12_344
; %bb.343:
	s_waitcnt lgkmcnt(0)
	v_cmp_gt_f32_e32 vcc, v5, v3
	v_cndmask_b32_e32 v3, v3, v5, vcc
	v_cmp_gt_f32_e32 vcc, v2, v4
	v_cndmask_b32_e32 v2, v2, v4, vcc
	v_mov_b32_e32 v10, 1
.LBB12_344:
	s_or_b64 exec, exec, s[8:9]
	v_mov_b32_e32 v1, v10
	s_waitcnt lgkmcnt(0)
	v_pk_mov_b32 v[4:5], v[2:3], v[2:3] op_sel:[0,1]
.LBB12_345:
	s_or_b64 exec, exec, s[2:3]
	s_waitcnt lgkmcnt(2)
	v_and_b32_e32 v9, 0xff, v1
	s_waitcnt lgkmcnt(0)
	v_pk_mov_b32 v[2:3], v[4:5], v[4:5] op_sel:[0,1]
	v_mov_b32_e32 v10, v1
	v_mov_b32_e32 v11, v4
	;; [unrolled: 1-line block ×3, first 2 shown]
.LBB12_346:
	s_or_b64 exec, exec, s[0:1]
	v_cmp_gt_u32_e32 vcc, 48, v8
	s_waitcnt lgkmcnt(2)
	v_cndmask_b32_e64 v1, 0, 1, vcc
	v_lshlrev_b32_e32 v1, 4, v1
	s_waitcnt lgkmcnt(0)
	v_add_lshl_u32 v5, v1, v6, 2
	ds_bpermute_b32 v1, v5, v9
	ds_bpermute_b32 v4, v5, v11
	;; [unrolled: 1-line block ×3, first 2 shown]
	v_add_u32_e32 v13, 16, v8
	v_cmp_lt_u32_e32 vcc, v13, v7
	s_and_saveexec_b64 s[0:1], vcc
	s_cbranch_execz .LBB12_352
; %bb.347:
	v_and_b32_e32 v9, 1, v10
	v_cmp_eq_u32_e32 vcc, 1, v9
	s_and_saveexec_b64 s[2:3], vcc
	s_cbranch_execz .LBB12_351
; %bb.348:
	s_waitcnt lgkmcnt(2)
	v_and_b32_e32 v1, 1, v1
	v_cmp_eq_u32_e32 vcc, 1, v1
	s_and_saveexec_b64 s[8:9], vcc
	s_cbranch_execz .LBB12_350
; %bb.349:
	s_waitcnt lgkmcnt(0)
	v_cmp_gt_f32_e32 vcc, v5, v3
	v_cndmask_b32_e32 v3, v3, v5, vcc
	v_cmp_gt_f32_e32 vcc, v2, v4
	v_cndmask_b32_e32 v2, v2, v4, vcc
	v_mov_b32_e32 v10, 1
.LBB12_350:
	s_or_b64 exec, exec, s[8:9]
	v_mov_b32_e32 v1, v10
	s_waitcnt lgkmcnt(0)
	v_pk_mov_b32 v[4:5], v[2:3], v[2:3] op_sel:[0,1]
.LBB12_351:
	s_or_b64 exec, exec, s[2:3]
	s_waitcnt lgkmcnt(2)
	v_and_b32_e32 v9, 0xff, v1
	s_waitcnt lgkmcnt(0)
	v_pk_mov_b32 v[2:3], v[4:5], v[4:5] op_sel:[0,1]
	v_mov_b32_e32 v10, v1
	v_mov_b32_e32 v11, v4
	;; [unrolled: 1-line block ×3, first 2 shown]
.LBB12_352:
	s_or_b64 exec, exec, s[0:1]
	v_cmp_gt_u32_e32 vcc, 32, v8
	s_waitcnt lgkmcnt(2)
	v_cndmask_b32_e64 v1, 0, 1, vcc
	v_lshlrev_b32_e32 v1, 5, v1
	s_waitcnt lgkmcnt(0)
	v_add_lshl_u32 v5, v1, v6, 2
	ds_bpermute_b32 v1, v5, v9
	ds_bpermute_b32 v4, v5, v11
	;; [unrolled: 1-line block ×3, first 2 shown]
	v_add_u32_e32 v8, 32, v8
	v_cmp_lt_u32_e32 vcc, v8, v7
	s_and_saveexec_b64 s[0:1], vcc
	s_cbranch_execz .LBB12_358
; %bb.353:
	v_and_b32_e32 v7, 1, v10
	v_cmp_eq_u32_e32 vcc, 1, v7
	s_and_saveexec_b64 s[2:3], vcc
	s_cbranch_execz .LBB12_357
; %bb.354:
	s_waitcnt lgkmcnt(2)
	v_and_b32_e32 v1, 1, v1
	v_cmp_eq_u32_e32 vcc, 1, v1
	s_and_saveexec_b64 s[8:9], vcc
	s_cbranch_execz .LBB12_356
; %bb.355:
	s_waitcnt lgkmcnt(0)
	v_cmp_gt_f32_e32 vcc, v5, v3
	v_cndmask_b32_e32 v3, v3, v5, vcc
	v_cmp_gt_f32_e32 vcc, v2, v4
	v_cndmask_b32_e32 v2, v2, v4, vcc
	v_mov_b32_e32 v10, 1
.LBB12_356:
	s_or_b64 exec, exec, s[8:9]
	v_mov_b32_e32 v1, v10
	s_waitcnt lgkmcnt(0)
	v_pk_mov_b32 v[4:5], v[2:3], v[2:3] op_sel:[0,1]
.LBB12_357:
	s_or_b64 exec, exec, s[2:3]
	s_waitcnt lgkmcnt(2)
	v_and_b32_e32 v9, 0xff, v1
	s_waitcnt lgkmcnt(0)
	v_pk_mov_b32 v[2:3], v[4:5], v[4:5] op_sel:[0,1]
	v_mov_b32_e32 v10, v1
.LBB12_358:
	s_or_b64 exec, exec, s[0:1]
	v_cmp_eq_u32_e32 vcc, 0, v6
	s_and_saveexec_b64 s[0:1], vcc
	s_cbranch_execz .LBB12_360
; %bb.359:
	s_waitcnt lgkmcnt(2)
	v_lshrrev_b32_e32 v1, 6, v0
	v_mul_u32_u24_e32 v1, 12, v1
	ds_write_b8 v1, v10
	ds_write2_b32 v1, v2, v3 offset0:1 offset1:2
.LBB12_360:
	s_or_b64 exec, exec, s[0:1]
	v_cmp_gt_u32_e32 vcc, 4, v0
	s_waitcnt lgkmcnt(0)
	s_barrier
	s_and_saveexec_b64 s[0:1], vcc
	s_cbranch_execz .LBB12_374
; %bb.361:
	v_mul_u32_u24_e32 v2, 12, v6
	ds_read_u8 v1, v2
	ds_read2_b32 v[2:3], v2 offset0:1 offset1:2
	v_and_b32_e32 v7, 3, v6
	v_cmp_ne_u32_e32 vcc, 3, v7
	v_addc_co_u32_e32 v4, vcc, 0, v6, vcc
	s_waitcnt lgkmcnt(1)
	v_and_b32_e32 v9, 0xff, v1
	v_lshlrev_b32_e32 v5, 2, v4
	ds_bpermute_b32 v8, v5, v9
	s_waitcnt lgkmcnt(1)
	ds_bpermute_b32 v4, v5, v2
	ds_bpermute_b32 v5, v5, v3
	s_add_i32 s10, s10, 63
	s_lshr_b32 s12, s10, 6
	v_add_u32_e32 v10, 1, v7
	v_cmp_gt_u32_e32 vcc, s12, v10
	v_mov_b32_e32 v10, v2
	v_mov_b32_e32 v11, v3
	s_and_saveexec_b64 s[2:3], vcc
	s_cbranch_execz .LBB12_367
; %bb.362:
	v_and_b32_e32 v9, 1, v1
	v_cmp_eq_u32_e32 vcc, 1, v9
	s_and_saveexec_b64 s[8:9], vcc
	s_cbranch_execz .LBB12_366
; %bb.363:
	s_waitcnt lgkmcnt(2)
	v_and_b32_e32 v8, 1, v8
	v_cmp_eq_u32_e32 vcc, 1, v8
	s_and_saveexec_b64 s[10:11], vcc
	s_cbranch_execz .LBB12_365
; %bb.364:
	s_waitcnt lgkmcnt(0)
	v_cmp_gt_f32_e32 vcc, v5, v3
	v_cndmask_b32_e32 v3, v3, v5, vcc
	v_cmp_gt_f32_e32 vcc, v2, v4
	v_cndmask_b32_e32 v2, v2, v4, vcc
	v_mov_b32_e32 v1, 1
.LBB12_365:
	s_or_b64 exec, exec, s[10:11]
	v_mov_b32_e32 v8, v1
	s_waitcnt lgkmcnt(0)
	v_pk_mov_b32 v[4:5], v[2:3], v[2:3] op_sel:[0,1]
.LBB12_366:
	s_or_b64 exec, exec, s[8:9]
	s_waitcnt lgkmcnt(2)
	v_and_b32_e32 v9, 0xff, v8
	s_waitcnt lgkmcnt(0)
	v_pk_mov_b32 v[2:3], v[4:5], v[4:5] op_sel:[0,1]
	v_mov_b32_e32 v1, v8
	v_mov_b32_e32 v10, v4
	;; [unrolled: 1-line block ×3, first 2 shown]
.LBB12_367:
	s_or_b64 exec, exec, s[2:3]
	v_cmp_gt_u32_e32 vcc, 2, v7
	s_waitcnt lgkmcnt(1)
	v_cndmask_b32_e64 v4, 0, 1, vcc
	v_lshlrev_b32_e32 v4, 1, v4
	s_waitcnt lgkmcnt(0)
	v_add_lshl_u32 v5, v4, v6, 2
	ds_bpermute_b32 v6, v5, v9
	ds_bpermute_b32 v4, v5, v10
	;; [unrolled: 1-line block ×3, first 2 shown]
	v_add_u32_e32 v7, 2, v7
	v_cmp_gt_u32_e32 vcc, s12, v7
	s_and_saveexec_b64 s[2:3], vcc
	s_cbranch_execz .LBB12_373
; %bb.368:
	v_and_b32_e32 v7, 1, v1
	v_cmp_eq_u32_e32 vcc, 1, v7
	s_and_saveexec_b64 s[8:9], vcc
	s_cbranch_execz .LBB12_372
; %bb.369:
	s_waitcnt lgkmcnt(2)
	v_and_b32_e32 v6, 1, v6
	v_cmp_eq_u32_e32 vcc, 1, v6
	s_and_saveexec_b64 s[10:11], vcc
	s_cbranch_execz .LBB12_371
; %bb.370:
	s_waitcnt lgkmcnt(0)
	v_cmp_gt_f32_e32 vcc, v5, v3
	v_cndmask_b32_e32 v3, v3, v5, vcc
	v_cmp_gt_f32_e32 vcc, v2, v4
	v_cndmask_b32_e32 v2, v2, v4, vcc
	v_mov_b32_e32 v1, 1
.LBB12_371:
	s_or_b64 exec, exec, s[10:11]
	v_mov_b32_e32 v6, v1
	s_waitcnt lgkmcnt(0)
	v_pk_mov_b32 v[4:5], v[2:3], v[2:3] op_sel:[0,1]
.LBB12_372:
	s_or_b64 exec, exec, s[8:9]
	s_waitcnt lgkmcnt(2)
	v_and_b32_e32 v9, 0xff, v6
	s_waitcnt lgkmcnt(0)
	v_pk_mov_b32 v[2:3], v[4:5], v[4:5] op_sel:[0,1]
.LBB12_373:
	s_or_b64 exec, exec, s[2:3]
.LBB12_374:
	s_or_b64 exec, exec, s[0:1]
.LBB12_375:
	v_cmp_eq_u32_e32 vcc, 0, v0
	s_mov_b64 s[16:17], 0
                                        ; implicit-def: $vgpr4_vgpr5
                                        ; implicit-def: $vgpr1
	s_and_saveexec_b64 s[0:1], vcc
	s_xor_b64 s[8:9], exec, s[0:1]
	s_cbranch_execz .LBB12_381
; %bb.376:
	s_cmp_eq_u64 s[38:39], 0
	s_waitcnt lgkmcnt(0)
	v_pk_mov_b32 v[4:5], s[34:35], s[34:35] op_sel:[0,1]
	v_mov_b32_e32 v1, s33
	s_cbranch_scc1 .LBB12_380
; %bb.377:
	s_bitcmp0_b32 s33, 0
	s_cbranch_scc1 .LBB12_379
; %bb.378:
	v_and_b32_e32 v1, 1, v9
	v_cmp_lt_f32_e32 vcc, s35, v3
	v_cmp_eq_u32_e64 s[2:3], 1, v1
	v_cmp_gt_f32_e64 s[0:1], s34, v2
	v_mov_b32_e32 v1, s35
	s_and_b64 vcc, s[2:3], vcc
	v_mov_b32_e32 v4, s33
	v_cndmask_b32_e32 v3, v1, v3, vcc
	v_mov_b32_e32 v1, s34
	s_and_b64 vcc, s[2:3], s[0:1]
	v_cndmask_b32_e64 v9, v4, 1, s[2:3]
	v_cndmask_b32_e32 v2, v1, v2, vcc
.LBB12_379:
	v_pk_mov_b32 v[4:5], v[2:3], v[2:3] op_sel:[0,1]
	v_mov_b32_e32 v1, v9
.LBB12_380:
	s_mov_b64 s[16:17], exec
.LBB12_381:
	s_or_b64 exec, exec, s[8:9]
	s_and_b64 vcc, exec, s[40:41]
	s_cbranch_vccnz .LBB12_106
.LBB12_382:
	s_branch .LBB12_531
.LBB12_383:
	v_mad_u64_u32 v[26:27], s[18:19], v25, 12, s[18:19]
	global_load_ubyte v1, v[26:27], off
	global_load_dwordx2 v[4:5], v[26:27], off offset:4
	s_or_b64 exec, exec, s[20:21]
	s_and_saveexec_b64 s[18:19], s[14:15]
	s_cbranch_execz .LBB12_240
.LBB12_384:
	s_waitcnt vmcnt(1)
	v_and_b32_e32 v25, 1, v18
	v_cmp_eq_u32_e64 s[14:15], 1, v25
	s_and_saveexec_b64 s[20:21], s[14:15]
	s_cbranch_execz .LBB12_388
; %bb.385:
	v_and_b32_e32 v24, 1, v24
	v_cmp_eq_u32_e64 s[14:15], 1, v24
	s_and_saveexec_b64 s[22:23], s[14:15]
	s_cbranch_execz .LBB12_387
; %bb.386:
	s_waitcnt vmcnt(0)
	v_cmp_lt_f32_e64 s[14:15], v3, v17
	v_cndmask_b32_e64 v3, v3, v17, s[14:15]
	v_cmp_lt_f32_e64 s[14:15], v16, v2
	v_cndmask_b32_e64 v2, v2, v16, s[14:15]
	v_mov_b32_e32 v18, 1
.LBB12_387:
	s_or_b64 exec, exec, s[22:23]
	s_waitcnt vmcnt(0)
	v_pk_mov_b32 v[16:17], v[2:3], v[2:3] op_sel:[0,1]
	v_mov_b32_e32 v24, v18
.LBB12_388:
	s_or_b64 exec, exec, s[20:21]
	v_mov_b32_e32 v18, v24
	s_waitcnt vmcnt(0)
	v_pk_mov_b32 v[2:3], v[16:17], v[16:17] op_sel:[0,1]
	s_or_b64 exec, exec, s[18:19]
	s_and_saveexec_b64 s[14:15], s[12:13]
	s_cbranch_execz .LBB12_241
.LBB12_389:
	s_waitcnt vmcnt(0)
	v_and_b32_e32 v16, 1, v18
	v_cmp_eq_u32_e64 s[12:13], 1, v16
	s_and_saveexec_b64 s[18:19], s[12:13]
	s_cbranch_execz .LBB12_393
; %bb.390:
	v_and_b32_e32 v16, 1, v23
	v_cmp_eq_u32_e64 s[12:13], 1, v16
	s_and_saveexec_b64 s[20:21], s[12:13]
; %bb.391:
	v_cmp_lt_f32_e64 s[12:13], v3, v15
	v_cndmask_b32_e64 v3, v3, v15, s[12:13]
	v_cmp_lt_f32_e64 s[12:13], v14, v2
	v_cndmask_b32_e64 v2, v2, v14, s[12:13]
	v_mov_b32_e32 v18, 1
; %bb.392:
	s_or_b64 exec, exec, s[20:21]
	v_pk_mov_b32 v[14:15], v[2:3], v[2:3] op_sel:[0,1]
	v_mov_b32_e32 v23, v18
.LBB12_393:
	s_or_b64 exec, exec, s[18:19]
	v_mov_b32_e32 v18, v23
	v_pk_mov_b32 v[2:3], v[14:15], v[14:15] op_sel:[0,1]
	s_or_b64 exec, exec, s[14:15]
	s_and_saveexec_b64 s[12:13], s[10:11]
	s_cbranch_execz .LBB12_242
.LBB12_394:
	s_waitcnt vmcnt(0)
	v_and_b32_e32 v14, 1, v18
	v_cmp_eq_u32_e64 s[10:11], 1, v14
	s_and_saveexec_b64 s[14:15], s[10:11]
	s_cbranch_execz .LBB12_398
; %bb.395:
	v_and_b32_e32 v14, 1, v22
	v_cmp_eq_u32_e64 s[10:11], 1, v14
	s_and_saveexec_b64 s[18:19], s[10:11]
; %bb.396:
	v_cmp_lt_f32_e64 s[10:11], v3, v13
	v_cndmask_b32_e64 v3, v3, v13, s[10:11]
	v_cmp_lt_f32_e64 s[10:11], v12, v2
	v_cndmask_b32_e64 v2, v2, v12, s[10:11]
	v_mov_b32_e32 v18, 1
; %bb.397:
	s_or_b64 exec, exec, s[18:19]
	v_pk_mov_b32 v[12:13], v[2:3], v[2:3] op_sel:[0,1]
	v_mov_b32_e32 v22, v18
.LBB12_398:
	s_or_b64 exec, exec, s[14:15]
	v_mov_b32_e32 v18, v22
	v_pk_mov_b32 v[2:3], v[12:13], v[12:13] op_sel:[0,1]
	s_or_b64 exec, exec, s[12:13]
	s_and_saveexec_b64 s[10:11], s[8:9]
	s_cbranch_execz .LBB12_243
.LBB12_399:
	s_waitcnt vmcnt(0)
	v_and_b32_e32 v12, 1, v18
	v_cmp_eq_u32_e64 s[8:9], 1, v12
	s_and_saveexec_b64 s[12:13], s[8:9]
	s_cbranch_execz .LBB12_403
; %bb.400:
	v_and_b32_e32 v12, 1, v21
	v_cmp_eq_u32_e64 s[8:9], 1, v12
	s_and_saveexec_b64 s[14:15], s[8:9]
; %bb.401:
	v_cmp_lt_f32_e64 s[8:9], v3, v11
	v_cndmask_b32_e64 v3, v3, v11, s[8:9]
	v_cmp_lt_f32_e64 s[8:9], v10, v2
	v_cndmask_b32_e64 v2, v2, v10, s[8:9]
	v_mov_b32_e32 v18, 1
; %bb.402:
	s_or_b64 exec, exec, s[14:15]
	v_pk_mov_b32 v[10:11], v[2:3], v[2:3] op_sel:[0,1]
	v_mov_b32_e32 v21, v18
.LBB12_403:
	s_or_b64 exec, exec, s[12:13]
	v_mov_b32_e32 v18, v21
	v_pk_mov_b32 v[2:3], v[10:11], v[10:11] op_sel:[0,1]
	s_or_b64 exec, exec, s[10:11]
	s_and_saveexec_b64 s[8:9], s[2:3]
	s_cbranch_execz .LBB12_244
.LBB12_404:
	s_waitcnt vmcnt(0)
	v_and_b32_e32 v10, 1, v18
	v_cmp_eq_u32_e64 s[2:3], 1, v10
	s_and_saveexec_b64 s[10:11], s[2:3]
	s_cbranch_execz .LBB12_408
; %bb.405:
	v_and_b32_e32 v10, 1, v20
	v_cmp_eq_u32_e64 s[2:3], 1, v10
	s_and_saveexec_b64 s[12:13], s[2:3]
; %bb.406:
	v_cmp_lt_f32_e64 s[2:3], v3, v9
	v_cndmask_b32_e64 v3, v3, v9, s[2:3]
	v_cmp_lt_f32_e64 s[2:3], v8, v2
	v_cndmask_b32_e64 v2, v2, v8, s[2:3]
	v_mov_b32_e32 v18, 1
; %bb.407:
	s_or_b64 exec, exec, s[12:13]
	v_pk_mov_b32 v[8:9], v[2:3], v[2:3] op_sel:[0,1]
	v_mov_b32_e32 v20, v18
.LBB12_408:
	s_or_b64 exec, exec, s[10:11]
	v_mov_b32_e32 v18, v20
	v_pk_mov_b32 v[2:3], v[8:9], v[8:9] op_sel:[0,1]
	s_or_b64 exec, exec, s[8:9]
	s_and_saveexec_b64 s[2:3], s[0:1]
	s_cbranch_execz .LBB12_245
.LBB12_409:
	s_waitcnt vmcnt(0)
	v_and_b32_e32 v8, 1, v18
	v_cmp_eq_u32_e64 s[0:1], 1, v8
	s_and_saveexec_b64 s[8:9], s[0:1]
	s_cbranch_execz .LBB12_413
; %bb.410:
	v_and_b32_e32 v8, 1, v19
	v_cmp_eq_u32_e64 s[0:1], 1, v8
	s_and_saveexec_b64 s[10:11], s[0:1]
; %bb.411:
	v_cmp_lt_f32_e64 s[0:1], v3, v7
	v_cndmask_b32_e64 v3, v3, v7, s[0:1]
	v_cmp_lt_f32_e64 s[0:1], v6, v2
	v_cndmask_b32_e64 v2, v2, v6, s[0:1]
	v_mov_b32_e32 v18, 1
; %bb.412:
	s_or_b64 exec, exec, s[10:11]
	v_pk_mov_b32 v[6:7], v[2:3], v[2:3] op_sel:[0,1]
	v_mov_b32_e32 v19, v18
.LBB12_413:
	s_or_b64 exec, exec, s[8:9]
	v_mov_b32_e32 v18, v19
	v_pk_mov_b32 v[2:3], v[6:7], v[6:7] op_sel:[0,1]
	s_or_b64 exec, exec, s[2:3]
	s_and_saveexec_b64 s[0:1], vcc
	s_cbranch_execz .LBB12_419
.LBB12_414:
	s_waitcnt vmcnt(0)
	v_and_b32_e32 v6, 1, v18
	v_cmp_eq_u32_e32 vcc, 1, v6
	s_and_saveexec_b64 s[2:3], vcc
	s_cbranch_execz .LBB12_418
; %bb.415:
	v_and_b32_e32 v1, 1, v1
	v_cmp_eq_u32_e32 vcc, 1, v1
	s_and_saveexec_b64 s[8:9], vcc
; %bb.416:
	v_cmp_lt_f32_e32 vcc, v3, v5
	v_cndmask_b32_e32 v3, v3, v5, vcc
	v_cmp_lt_f32_e32 vcc, v4, v2
	v_cndmask_b32_e32 v2, v2, v4, vcc
	v_mov_b32_e32 v18, 1
; %bb.417:
	s_or_b64 exec, exec, s[8:9]
	v_pk_mov_b32 v[4:5], v[2:3], v[2:3] op_sel:[0,1]
	v_mov_b32_e32 v1, v18
.LBB12_418:
	s_or_b64 exec, exec, s[2:3]
	v_mov_b32_e32 v18, v1
	v_pk_mov_b32 v[2:3], v[4:5], v[4:5] op_sel:[0,1]
.LBB12_419:
	s_or_b64 exec, exec, s[0:1]
	s_waitcnt vmcnt(1)
	v_mbcnt_lo_u32_b32 v1, -1, 0
	v_mbcnt_hi_u32_b32 v1, -1, v1
	s_waitcnt vmcnt(0)
	v_and_b32_e32 v7, 63, v1
	s_min_u32 s10, s24, 0x100
	v_and_b32_e32 v4, 0xc0, v0
	v_cmp_ne_u32_e32 vcc, 63, v7
	v_sub_u32_e64 v6, s10, v4 clamp
	v_addc_co_u32_e32 v4, vcc, 0, v1, vcc
	v_and_b32_e32 v9, 0xff, v18
	v_lshlrev_b32_e32 v5, 2, v4
	ds_bpermute_b32 v12, v5, v9
	ds_bpermute_b32 v4, v5, v2
	;; [unrolled: 1-line block ×3, first 2 shown]
	v_add_u32_e32 v8, 1, v7
	v_cmp_lt_u32_e32 vcc, v8, v6
	v_mov_b32_e32 v8, v9
	v_mov_b32_e32 v10, v2
	v_mov_b32_e32 v11, v3
	s_and_saveexec_b64 s[0:1], vcc
	s_xor_b64 s[0:1], exec, s[0:1]
	s_cbranch_execz .LBB12_425
; %bb.420:
	v_and_b32_e32 v8, 1, v18
	v_cmp_eq_u32_e32 vcc, 1, v8
	s_and_saveexec_b64 s[2:3], vcc
	s_cbranch_execz .LBB12_424
; %bb.421:
	s_waitcnt lgkmcnt(2)
	v_and_b32_e32 v8, 1, v12
	v_cmp_eq_u32_e32 vcc, 1, v8
	s_and_saveexec_b64 s[8:9], vcc
	s_cbranch_execz .LBB12_423
; %bb.422:
	s_waitcnt lgkmcnt(0)
	v_cmp_lt_f32_e32 vcc, v3, v5
	v_cndmask_b32_e32 v3, v3, v5, vcc
	v_cmp_gt_f32_e32 vcc, v2, v4
	v_cndmask_b32_e32 v2, v2, v4, vcc
	v_mov_b32_e32 v9, 1
.LBB12_423:
	s_or_b64 exec, exec, s[8:9]
	v_mov_b32_e32 v12, v9
	s_waitcnt lgkmcnt(0)
	v_pk_mov_b32 v[4:5], v[2:3], v[2:3] op_sel:[0,1]
.LBB12_424:
	s_or_b64 exec, exec, s[2:3]
	s_waitcnt lgkmcnt(2)
	v_and_b32_e32 v8, 0xff, v12
	s_waitcnt lgkmcnt(0)
	v_pk_mov_b32 v[2:3], v[4:5], v[4:5] op_sel:[0,1]
	v_mov_b32_e32 v9, v12
	v_mov_b32_e32 v10, v4
	v_mov_b32_e32 v11, v5
.LBB12_425:
	s_or_b64 exec, exec, s[0:1]
	v_cmp_gt_u32_e32 vcc, 62, v7
	s_waitcnt lgkmcnt(1)
	v_cndmask_b32_e64 v4, 0, 1, vcc
	v_lshlrev_b32_e32 v4, 1, v4
	s_waitcnt lgkmcnt(0)
	v_add_lshl_u32 v5, v4, v1, 2
	ds_bpermute_b32 v12, v5, v8
	ds_bpermute_b32 v4, v5, v10
	;; [unrolled: 1-line block ×3, first 2 shown]
	v_add_u32_e32 v13, 2, v7
	v_cmp_lt_u32_e32 vcc, v13, v6
	s_and_saveexec_b64 s[0:1], vcc
	s_cbranch_execz .LBB12_431
; %bb.426:
	v_and_b32_e32 v8, 1, v9
	v_cmp_eq_u32_e32 vcc, 1, v8
	s_and_saveexec_b64 s[2:3], vcc
	s_cbranch_execz .LBB12_430
; %bb.427:
	s_waitcnt lgkmcnt(2)
	v_and_b32_e32 v8, 1, v12
	v_cmp_eq_u32_e32 vcc, 1, v8
	s_and_saveexec_b64 s[8:9], vcc
	s_cbranch_execz .LBB12_429
; %bb.428:
	s_waitcnt lgkmcnt(0)
	v_cmp_lt_f32_e32 vcc, v3, v5
	v_cndmask_b32_e32 v3, v3, v5, vcc
	v_cmp_lt_f32_e32 vcc, v4, v2
	v_cndmask_b32_e32 v2, v2, v4, vcc
	v_mov_b32_e32 v9, 1
.LBB12_429:
	s_or_b64 exec, exec, s[8:9]
	v_mov_b32_e32 v12, v9
	s_waitcnt lgkmcnt(0)
	v_pk_mov_b32 v[4:5], v[2:3], v[2:3] op_sel:[0,1]
.LBB12_430:
	s_or_b64 exec, exec, s[2:3]
	s_waitcnt lgkmcnt(2)
	v_and_b32_e32 v8, 0xff, v12
	s_waitcnt lgkmcnt(0)
	v_pk_mov_b32 v[2:3], v[4:5], v[4:5] op_sel:[0,1]
	v_mov_b32_e32 v9, v12
	v_mov_b32_e32 v10, v4
	;; [unrolled: 1-line block ×3, first 2 shown]
.LBB12_431:
	s_or_b64 exec, exec, s[0:1]
	v_cmp_gt_u32_e32 vcc, 60, v7
	s_waitcnt lgkmcnt(1)
	v_cndmask_b32_e64 v4, 0, 1, vcc
	v_lshlrev_b32_e32 v4, 2, v4
	s_waitcnt lgkmcnt(0)
	v_add_lshl_u32 v5, v4, v1, 2
	ds_bpermute_b32 v12, v5, v8
	ds_bpermute_b32 v4, v5, v10
	;; [unrolled: 1-line block ×3, first 2 shown]
	v_add_u32_e32 v13, 4, v7
	v_cmp_lt_u32_e32 vcc, v13, v6
	s_and_saveexec_b64 s[0:1], vcc
	s_cbranch_execz .LBB12_437
; %bb.432:
	v_and_b32_e32 v8, 1, v9
	v_cmp_eq_u32_e32 vcc, 1, v8
	s_and_saveexec_b64 s[2:3], vcc
	s_cbranch_execz .LBB12_436
; %bb.433:
	s_waitcnt lgkmcnt(2)
	v_and_b32_e32 v8, 1, v12
	v_cmp_eq_u32_e32 vcc, 1, v8
	s_and_saveexec_b64 s[8:9], vcc
	s_cbranch_execz .LBB12_435
; %bb.434:
	s_waitcnt lgkmcnt(0)
	v_cmp_lt_f32_e32 vcc, v3, v5
	v_cndmask_b32_e32 v3, v3, v5, vcc
	v_cmp_lt_f32_e32 vcc, v4, v2
	v_cndmask_b32_e32 v2, v2, v4, vcc
	v_mov_b32_e32 v9, 1
.LBB12_435:
	s_or_b64 exec, exec, s[8:9]
	v_mov_b32_e32 v12, v9
	s_waitcnt lgkmcnt(0)
	v_pk_mov_b32 v[4:5], v[2:3], v[2:3] op_sel:[0,1]
.LBB12_436:
	s_or_b64 exec, exec, s[2:3]
	s_waitcnt lgkmcnt(2)
	v_and_b32_e32 v8, 0xff, v12
	s_waitcnt lgkmcnt(0)
	v_pk_mov_b32 v[2:3], v[4:5], v[4:5] op_sel:[0,1]
	v_mov_b32_e32 v9, v12
	v_mov_b32_e32 v10, v4
	;; [unrolled: 1-line block ×3, first 2 shown]
.LBB12_437:
	s_or_b64 exec, exec, s[0:1]
	v_cmp_gt_u32_e32 vcc, 56, v7
	s_waitcnt lgkmcnt(1)
	v_cndmask_b32_e64 v4, 0, 1, vcc
	v_lshlrev_b32_e32 v4, 3, v4
	s_waitcnt lgkmcnt(0)
	v_add_lshl_u32 v5, v4, v1, 2
	ds_bpermute_b32 v12, v5, v8
	ds_bpermute_b32 v4, v5, v10
	ds_bpermute_b32 v5, v5, v11
	v_add_u32_e32 v13, 8, v7
	v_cmp_lt_u32_e32 vcc, v13, v6
	s_and_saveexec_b64 s[0:1], vcc
	s_cbranch_execz .LBB12_443
; %bb.438:
	v_and_b32_e32 v8, 1, v9
	v_cmp_eq_u32_e32 vcc, 1, v8
	s_and_saveexec_b64 s[2:3], vcc
	s_cbranch_execz .LBB12_442
; %bb.439:
	s_waitcnt lgkmcnt(2)
	v_and_b32_e32 v8, 1, v12
	v_cmp_eq_u32_e32 vcc, 1, v8
	s_and_saveexec_b64 s[8:9], vcc
	s_cbranch_execz .LBB12_441
; %bb.440:
	s_waitcnt lgkmcnt(0)
	v_cmp_gt_f32_e32 vcc, v5, v3
	v_cndmask_b32_e32 v3, v3, v5, vcc
	v_cmp_gt_f32_e32 vcc, v2, v4
	v_cndmask_b32_e32 v2, v2, v4, vcc
	v_mov_b32_e32 v9, 1
.LBB12_441:
	s_or_b64 exec, exec, s[8:9]
	v_mov_b32_e32 v12, v9
	s_waitcnt lgkmcnt(0)
	v_pk_mov_b32 v[4:5], v[2:3], v[2:3] op_sel:[0,1]
.LBB12_442:
	s_or_b64 exec, exec, s[2:3]
	s_waitcnt lgkmcnt(2)
	v_and_b32_e32 v8, 0xff, v12
	s_waitcnt lgkmcnt(0)
	v_pk_mov_b32 v[2:3], v[4:5], v[4:5] op_sel:[0,1]
	v_mov_b32_e32 v9, v12
	v_mov_b32_e32 v10, v4
	;; [unrolled: 1-line block ×3, first 2 shown]
.LBB12_443:
	s_or_b64 exec, exec, s[0:1]
	v_cmp_gt_u32_e32 vcc, 48, v7
	s_waitcnt lgkmcnt(1)
	v_cndmask_b32_e64 v4, 0, 1, vcc
	v_lshlrev_b32_e32 v4, 4, v4
	s_waitcnt lgkmcnt(0)
	v_add_lshl_u32 v5, v4, v1, 2
	ds_bpermute_b32 v12, v5, v8
	ds_bpermute_b32 v4, v5, v10
	;; [unrolled: 1-line block ×3, first 2 shown]
	v_add_u32_e32 v13, 16, v7
	v_cmp_lt_u32_e32 vcc, v13, v6
	s_and_saveexec_b64 s[0:1], vcc
	s_cbranch_execz .LBB12_449
; %bb.444:
	v_and_b32_e32 v8, 1, v9
	v_cmp_eq_u32_e32 vcc, 1, v8
	s_and_saveexec_b64 s[2:3], vcc
	s_cbranch_execz .LBB12_448
; %bb.445:
	s_waitcnt lgkmcnt(2)
	v_and_b32_e32 v8, 1, v12
	v_cmp_eq_u32_e32 vcc, 1, v8
	s_and_saveexec_b64 s[8:9], vcc
	s_cbranch_execz .LBB12_447
; %bb.446:
	s_waitcnt lgkmcnt(0)
	v_cmp_gt_f32_e32 vcc, v5, v3
	v_cndmask_b32_e32 v3, v3, v5, vcc
	v_cmp_gt_f32_e32 vcc, v2, v4
	v_cndmask_b32_e32 v2, v2, v4, vcc
	v_mov_b32_e32 v9, 1
.LBB12_447:
	s_or_b64 exec, exec, s[8:9]
	v_mov_b32_e32 v12, v9
	s_waitcnt lgkmcnt(0)
	v_pk_mov_b32 v[4:5], v[2:3], v[2:3] op_sel:[0,1]
.LBB12_448:
	s_or_b64 exec, exec, s[2:3]
	s_waitcnt lgkmcnt(2)
	v_and_b32_e32 v8, 0xff, v12
	s_waitcnt lgkmcnt(0)
	v_pk_mov_b32 v[2:3], v[4:5], v[4:5] op_sel:[0,1]
	v_mov_b32_e32 v9, v12
	v_mov_b32_e32 v10, v4
	;; [unrolled: 1-line block ×3, first 2 shown]
.LBB12_449:
	s_or_b64 exec, exec, s[0:1]
	v_cmp_gt_u32_e32 vcc, 32, v7
	s_waitcnt lgkmcnt(1)
	v_cndmask_b32_e64 v4, 0, 1, vcc
	v_lshlrev_b32_e32 v4, 5, v4
	s_waitcnt lgkmcnt(0)
	v_add_lshl_u32 v5, v4, v1, 2
	ds_bpermute_b32 v12, v5, v8
	ds_bpermute_b32 v4, v5, v10
	;; [unrolled: 1-line block ×3, first 2 shown]
	v_add_u32_e32 v7, 32, v7
	v_cmp_lt_u32_e32 vcc, v7, v6
	s_and_saveexec_b64 s[0:1], vcc
	s_cbranch_execz .LBB12_455
; %bb.450:
	v_and_b32_e32 v6, 1, v9
	v_cmp_eq_u32_e32 vcc, 1, v6
	s_and_saveexec_b64 s[2:3], vcc
	s_cbranch_execz .LBB12_454
; %bb.451:
	s_waitcnt lgkmcnt(2)
	v_and_b32_e32 v6, 1, v12
	v_cmp_eq_u32_e32 vcc, 1, v6
	s_and_saveexec_b64 s[8:9], vcc
	s_cbranch_execz .LBB12_453
; %bb.452:
	s_waitcnt lgkmcnt(0)
	v_cmp_gt_f32_e32 vcc, v5, v3
	v_cndmask_b32_e32 v3, v3, v5, vcc
	v_cmp_gt_f32_e32 vcc, v2, v4
	v_cndmask_b32_e32 v2, v2, v4, vcc
	v_mov_b32_e32 v9, 1
.LBB12_453:
	s_or_b64 exec, exec, s[8:9]
	v_mov_b32_e32 v12, v9
	s_waitcnt lgkmcnt(0)
	v_pk_mov_b32 v[4:5], v[2:3], v[2:3] op_sel:[0,1]
.LBB12_454:
	s_or_b64 exec, exec, s[2:3]
	s_waitcnt lgkmcnt(2)
	v_and_b32_e32 v8, 0xff, v12
	s_waitcnt lgkmcnt(0)
	v_pk_mov_b32 v[2:3], v[4:5], v[4:5] op_sel:[0,1]
	v_mov_b32_e32 v9, v12
.LBB12_455:
	s_or_b64 exec, exec, s[0:1]
	v_cmp_eq_u32_e32 vcc, 0, v1
	s_and_saveexec_b64 s[0:1], vcc
	s_cbranch_execz .LBB12_457
; %bb.456:
	s_waitcnt lgkmcnt(1)
	v_lshrrev_b32_e32 v4, 6, v0
	v_mul_u32_u24_e32 v4, 12, v4
	ds_write_b8 v4, v9
	ds_write2_b32 v4, v2, v3 offset0:1 offset1:2
.LBB12_457:
	s_or_b64 exec, exec, s[0:1]
	v_cmp_gt_u32_e32 vcc, 4, v0
	s_waitcnt lgkmcnt(0)
	s_barrier
	s_and_saveexec_b64 s[0:1], vcc
	s_cbranch_execz .LBB12_471
; %bb.458:
	v_mul_u32_u24_e32 v2, 12, v1
	ds_read_u8 v6, v2
	ds_read2_b32 v[2:3], v2 offset0:1 offset1:2
	v_and_b32_e32 v7, 3, v1
	v_cmp_ne_u32_e32 vcc, 3, v7
	v_addc_co_u32_e32 v4, vcc, 0, v1, vcc
	s_waitcnt lgkmcnt(1)
	v_and_b32_e32 v8, 0xff, v6
	v_lshlrev_b32_e32 v5, 2, v4
	ds_bpermute_b32 v9, v5, v8
	s_waitcnt lgkmcnt(1)
	ds_bpermute_b32 v4, v5, v2
	ds_bpermute_b32 v5, v5, v3
	s_add_i32 s10, s10, 63
	s_lshr_b32 s12, s10, 6
	v_add_u32_e32 v10, 1, v7
	v_cmp_gt_u32_e32 vcc, s12, v10
	v_mov_b32_e32 v10, v2
	v_mov_b32_e32 v11, v3
	s_and_saveexec_b64 s[2:3], vcc
	s_cbranch_execz .LBB12_464
; %bb.459:
	v_and_b32_e32 v8, 1, v6
	v_cmp_eq_u32_e32 vcc, 1, v8
	s_and_saveexec_b64 s[8:9], vcc
	s_cbranch_execz .LBB12_463
; %bb.460:
	s_waitcnt lgkmcnt(2)
	v_and_b32_e32 v8, 1, v9
	v_cmp_eq_u32_e32 vcc, 1, v8
	s_and_saveexec_b64 s[10:11], vcc
	s_cbranch_execz .LBB12_462
; %bb.461:
	s_waitcnt lgkmcnt(0)
	v_cmp_gt_f32_e32 vcc, v5, v3
	v_cndmask_b32_e32 v3, v3, v5, vcc
	v_cmp_gt_f32_e32 vcc, v2, v4
	v_cndmask_b32_e32 v2, v2, v4, vcc
	v_mov_b32_e32 v6, 1
.LBB12_462:
	s_or_b64 exec, exec, s[10:11]
	v_mov_b32_e32 v9, v6
	s_waitcnt lgkmcnt(0)
	v_pk_mov_b32 v[4:5], v[2:3], v[2:3] op_sel:[0,1]
.LBB12_463:
	s_or_b64 exec, exec, s[8:9]
	s_waitcnt lgkmcnt(2)
	v_and_b32_e32 v8, 0xff, v9
	s_waitcnt lgkmcnt(0)
	v_pk_mov_b32 v[2:3], v[4:5], v[4:5] op_sel:[0,1]
	v_mov_b32_e32 v6, v9
	v_mov_b32_e32 v10, v4
	;; [unrolled: 1-line block ×3, first 2 shown]
.LBB12_464:
	s_or_b64 exec, exec, s[2:3]
	v_cmp_gt_u32_e32 vcc, 2, v7
	s_waitcnt lgkmcnt(1)
	v_cndmask_b32_e64 v4, 0, 1, vcc
	v_lshlrev_b32_e32 v4, 1, v4
	s_waitcnt lgkmcnt(0)
	v_add_lshl_u32 v5, v4, v1, 2
	ds_bpermute_b32 v1, v5, v8
	ds_bpermute_b32 v4, v5, v10
	;; [unrolled: 1-line block ×3, first 2 shown]
	v_add_u32_e32 v7, 2, v7
	v_cmp_gt_u32_e32 vcc, s12, v7
	s_and_saveexec_b64 s[2:3], vcc
	s_cbranch_execz .LBB12_470
; %bb.465:
	v_and_b32_e32 v7, 1, v6
	v_cmp_eq_u32_e32 vcc, 1, v7
	s_and_saveexec_b64 s[8:9], vcc
	s_cbranch_execz .LBB12_469
; %bb.466:
	s_waitcnt lgkmcnt(2)
	v_and_b32_e32 v1, 1, v1
	v_cmp_eq_u32_e32 vcc, 1, v1
	s_and_saveexec_b64 s[10:11], vcc
	s_cbranch_execz .LBB12_468
; %bb.467:
	s_waitcnt lgkmcnt(0)
	v_cmp_gt_f32_e32 vcc, v5, v3
	v_cndmask_b32_e32 v3, v3, v5, vcc
	v_cmp_gt_f32_e32 vcc, v2, v4
	v_cndmask_b32_e32 v2, v2, v4, vcc
	v_mov_b32_e32 v6, 1
.LBB12_468:
	s_or_b64 exec, exec, s[10:11]
	v_mov_b32_e32 v1, v6
	s_waitcnt lgkmcnt(0)
	v_pk_mov_b32 v[4:5], v[2:3], v[2:3] op_sel:[0,1]
.LBB12_469:
	s_or_b64 exec, exec, s[8:9]
	s_waitcnt lgkmcnt(2)
	v_and_b32_e32 v8, 0xff, v1
	s_waitcnt lgkmcnt(0)
	v_pk_mov_b32 v[2:3], v[4:5], v[4:5] op_sel:[0,1]
.LBB12_470:
	s_or_b64 exec, exec, s[2:3]
.LBB12_471:
	s_or_b64 exec, exec, s[0:1]
.LBB12_472:
	v_cmp_eq_u32_e32 vcc, 0, v0
                                        ; implicit-def: $vgpr4_vgpr5
                                        ; implicit-def: $vgpr1
	s_and_saveexec_b64 s[0:1], vcc
	s_xor_b64 s[8:9], exec, s[0:1]
	s_cbranch_execz .LBB12_478
; %bb.473:
	s_cmp_eq_u64 s[38:39], 0
	s_waitcnt lgkmcnt(0)
	v_pk_mov_b32 v[4:5], s[34:35], s[34:35] op_sel:[0,1]
	v_mov_b32_e32 v1, s33
	s_cbranch_scc1 .LBB12_477
; %bb.474:
	s_bitcmp0_b32 s33, 0
	s_cbranch_scc1 .LBB12_476
; %bb.475:
	v_and_b32_e32 v1, 1, v8
	v_cmp_lt_f32_e32 vcc, s35, v3
	v_cmp_eq_u32_e64 s[2:3], 1, v1
	v_cmp_gt_f32_e64 s[0:1], s34, v2
	v_mov_b32_e32 v1, s35
	s_and_b64 vcc, s[2:3], vcc
	v_mov_b32_e32 v4, s33
	v_cndmask_b32_e32 v3, v1, v3, vcc
	v_mov_b32_e32 v1, s34
	s_and_b64 vcc, s[2:3], s[0:1]
	v_cndmask_b32_e64 v8, v4, 1, s[2:3]
	v_cndmask_b32_e32 v2, v1, v2, vcc
.LBB12_476:
	v_pk_mov_b32 v[4:5], v[2:3], v[2:3] op_sel:[0,1]
	v_mov_b32_e32 v1, v8
.LBB12_477:
	s_or_b64 s[16:17], s[16:17], exec
.LBB12_478:
	s_or_b64 exec, exec, s[8:9]
	s_branch .LBB12_531
.LBB12_479:
	s_cmp_eq_u32 s48, 4
	s_cbranch_scc0 .LBB12_530
; %bb.480:
	s_lshl_b32 s12, s6, 10
	s_lshr_b64 s[0:1], s[38:39], 10
	s_mul_i32 s2, s6, 0x3000
	s_mul_hi_u32 s3, s12, 12
	s_add_u32 s8, s36, s2
	s_mov_b32 s7, 0
	s_addc_u32 s9, s37, s3
	s_cmp_lg_u64 s[0:1], s[6:7]
	s_cbranch_scc0 .LBB12_532
; %bb.481:
	v_mad_u64_u32 v[8:9], s[0:1], v0, 12, s[8:9]
	v_add_co_u32_e32 v14, vcc, 0x1000, v8
	v_addc_co_u32_e32 v15, vcc, 0, v9, vcc
	v_add_co_u32_e32 v16, vcc, 0x2000, v8
	global_load_ubyte v12, v[8:9], off
	global_load_ubyte v11, v[8:9], off offset:3072
	v_addc_co_u32_e32 v17, vcc, 0, v9, vcc
	global_load_ubyte v10, v[14:15], off offset:2048
	s_waitcnt lgkmcnt(2)
	global_load_dwordx2 v[6:7], v[8:9], off offset:3076
	s_waitcnt lgkmcnt(0)
	global_load_dwordx2 v[2:3], v[16:17], off offset:1028
	global_load_ubyte v1, v[16:17], off offset:1024
	global_load_dwordx2 v[4:5], v[14:15], off offset:2052
	s_waitcnt vmcnt(6)
	v_and_b32_e32 v13, 1, v12
	v_cmp_eq_u32_e32 vcc, 1, v13
	s_and_saveexec_b64 s[0:1], vcc
	s_cbranch_execz .LBB12_485
; %bb.482:
	global_load_dwordx2 v[8:9], v[8:9], off offset:4
	s_waitcnt vmcnt(6)
	v_and_b32_e32 v11, 1, v11
	v_cmp_eq_u32_e32 vcc, 1, v11
	s_and_saveexec_b64 s[2:3], vcc
	s_cbranch_execz .LBB12_484
; %bb.483:
	s_waitcnt vmcnt(0)
	v_cmp_lt_f32_e32 vcc, v9, v7
	v_cndmask_b32_e32 v9, v9, v7, vcc
	v_cmp_lt_f32_e32 vcc, v6, v8
	v_cndmask_b32_e32 v8, v8, v6, vcc
	v_mov_b32_e32 v12, 1
.LBB12_484:
	s_or_b64 exec, exec, s[2:3]
	v_mov_b32_e32 v11, v12
	s_waitcnt vmcnt(0)
	v_pk_mov_b32 v[6:7], v[8:9], v[8:9] op_sel:[0,1]
.LBB12_485:
	s_or_b64 exec, exec, s[0:1]
	s_waitcnt vmcnt(5)
	v_and_b32_e32 v8, 1, v11
	v_cmp_eq_u32_e32 vcc, 1, v8
	s_and_saveexec_b64 s[0:1], vcc
	s_cbranch_execz .LBB12_489
; %bb.486:
	s_waitcnt vmcnt(4)
	v_and_b32_e32 v8, 1, v10
	v_cmp_eq_u32_e32 vcc, 1, v8
	s_and_saveexec_b64 s[2:3], vcc
	s_cbranch_execz .LBB12_488
; %bb.487:
	s_waitcnt vmcnt(0)
	v_cmp_lt_f32_e32 vcc, v7, v5
	v_cndmask_b32_e32 v7, v7, v5, vcc
	v_cmp_lt_f32_e32 vcc, v4, v6
	v_cndmask_b32_e32 v6, v6, v4, vcc
	v_mov_b32_e32 v11, 1
.LBB12_488:
	s_or_b64 exec, exec, s[2:3]
	v_mov_b32_e32 v10, v11
	s_waitcnt vmcnt(0)
	v_pk_mov_b32 v[4:5], v[6:7], v[6:7] op_sel:[0,1]
.LBB12_489:
	s_or_b64 exec, exec, s[0:1]
	s_waitcnt vmcnt(3)
	v_and_b32_e32 v6, 1, v10
	v_cmp_eq_u32_e32 vcc, 1, v6
	s_and_saveexec_b64 s[0:1], vcc
	s_cbranch_execz .LBB12_493
; %bb.490:
	s_waitcnt vmcnt(1)
	v_and_b32_e32 v1, 1, v1
	v_cmp_eq_u32_e32 vcc, 1, v1
	s_and_saveexec_b64 s[2:3], vcc
	s_cbranch_execz .LBB12_492
; %bb.491:
	s_waitcnt vmcnt(0)
	v_cmp_lt_f32_e32 vcc, v5, v3
	v_cndmask_b32_e32 v5, v5, v3, vcc
	v_cmp_lt_f32_e32 vcc, v2, v4
	v_cndmask_b32_e32 v4, v4, v2, vcc
	v_mov_b32_e32 v10, 1
.LBB12_492:
	s_or_b64 exec, exec, s[2:3]
	v_mov_b32_e32 v1, v10
	s_waitcnt vmcnt(0)
	v_pk_mov_b32 v[2:3], v[4:5], v[4:5] op_sel:[0,1]
.LBB12_493:
	s_or_b64 exec, exec, s[0:1]
	s_waitcnt vmcnt(0)
	v_and_b32_e32 v4, 0xff, v1
	v_mov_b32_dpp v5, v3 quad_perm:[1,0,3,2] row_mask:0xf bank_mask:0xf bound_ctrl:1
	s_nop 0
	v_mov_b32_dpp v6, v4 quad_perm:[1,0,3,2] row_mask:0xf bank_mask:0xf bound_ctrl:1
	v_and_b32_e32 v7, 1, v6
	v_mov_b32_dpp v4, v2 quad_perm:[1,0,3,2] row_mask:0xf bank_mask:0xf bound_ctrl:1
	v_cmp_eq_u32_e32 vcc, 1, v7
	s_and_saveexec_b64 s[0:1], vcc
	s_xor_b64 s[0:1], exec, s[0:1]
	s_cbranch_execz .LBB12_497
; %bb.494:
	v_and_b32_e32 v1, 1, v1
	v_cmp_eq_u32_e32 vcc, 1, v1
	s_and_saveexec_b64 s[2:3], vcc
; %bb.495:
	v_cmp_gt_f32_e32 vcc, v3, v5
	v_cndmask_b32_e32 v5, v5, v3, vcc
	v_cmp_lt_f32_e32 vcc, v2, v4
	v_cndmask_b32_e32 v4, v4, v2, vcc
	v_mov_b32_e32 v6, 1
; %bb.496:
	s_or_b64 exec, exec, s[2:3]
	v_mov_b32_e32 v1, v6
	v_pk_mov_b32 v[2:3], v[4:5], v[4:5] op_sel:[0,1]
.LBB12_497:
	s_or_b64 exec, exec, s[0:1]
	v_and_b32_e32 v4, 0xff, v1
	v_mov_b32_dpp v5, v3 quad_perm:[2,3,0,1] row_mask:0xf bank_mask:0xf bound_ctrl:1
	s_nop 0
	v_mov_b32_dpp v6, v4 quad_perm:[2,3,0,1] row_mask:0xf bank_mask:0xf bound_ctrl:1
	v_and_b32_e32 v7, 1, v6
	v_mov_b32_dpp v4, v2 quad_perm:[2,3,0,1] row_mask:0xf bank_mask:0xf bound_ctrl:1
	v_cmp_eq_u32_e32 vcc, 1, v7
	s_and_saveexec_b64 s[0:1], vcc
	s_cbranch_execz .LBB12_501
; %bb.498:
	v_and_b32_e32 v1, 1, v1
	v_cmp_eq_u32_e32 vcc, 1, v1
	s_and_saveexec_b64 s[2:3], vcc
; %bb.499:
	v_cmp_lt_f32_e32 vcc, v5, v3
	v_cndmask_b32_e32 v5, v5, v3, vcc
	v_cmp_lt_f32_e32 vcc, v2, v4
	v_cndmask_b32_e32 v4, v4, v2, vcc
	v_mov_b32_e32 v6, 1
; %bb.500:
	s_or_b64 exec, exec, s[2:3]
	v_mov_b32_e32 v1, v6
	v_pk_mov_b32 v[2:3], v[4:5], v[4:5] op_sel:[0,1]
.LBB12_501:
	s_or_b64 exec, exec, s[0:1]
	v_and_b32_e32 v4, 0xff, v1
	v_mov_b32_dpp v5, v3 row_ror:4 row_mask:0xf bank_mask:0xf bound_ctrl:1
	s_nop 0
	v_mov_b32_dpp v6, v4 row_ror:4 row_mask:0xf bank_mask:0xf bound_ctrl:1
	v_and_b32_e32 v7, 1, v6
	v_mov_b32_dpp v4, v2 row_ror:4 row_mask:0xf bank_mask:0xf bound_ctrl:1
	v_cmp_eq_u32_e32 vcc, 1, v7
	s_and_saveexec_b64 s[0:1], vcc
	s_cbranch_execz .LBB12_505
; %bb.502:
	v_and_b32_e32 v1, 1, v1
	v_cmp_eq_u32_e32 vcc, 1, v1
	s_and_saveexec_b64 s[2:3], vcc
; %bb.503:
	v_cmp_lt_f32_e32 vcc, v5, v3
	v_cndmask_b32_e32 v5, v5, v3, vcc
	v_cmp_lt_f32_e32 vcc, v2, v4
	v_cndmask_b32_e32 v4, v4, v2, vcc
	v_mov_b32_e32 v6, 1
; %bb.504:
	s_or_b64 exec, exec, s[2:3]
	v_mov_b32_e32 v1, v6
	v_pk_mov_b32 v[2:3], v[4:5], v[4:5] op_sel:[0,1]
.LBB12_505:
	s_or_b64 exec, exec, s[0:1]
	v_and_b32_e32 v4, 0xff, v1
	v_mov_b32_dpp v5, v3 row_ror:8 row_mask:0xf bank_mask:0xf bound_ctrl:1
	s_nop 0
	v_mov_b32_dpp v6, v4 row_ror:8 row_mask:0xf bank_mask:0xf bound_ctrl:1
	v_and_b32_e32 v7, 1, v6
	v_mov_b32_dpp v4, v2 row_ror:8 row_mask:0xf bank_mask:0xf bound_ctrl:1
	v_cmp_eq_u32_e32 vcc, 1, v7
	s_and_saveexec_b64 s[0:1], vcc
	s_cbranch_execz .LBB12_509
; %bb.506:
	v_and_b32_e32 v1, 1, v1
	v_cmp_eq_u32_e32 vcc, 1, v1
	s_and_saveexec_b64 s[2:3], vcc
; %bb.507:
	v_cmp_lt_f32_e32 vcc, v5, v3
	v_cndmask_b32_e32 v5, v5, v3, vcc
	v_cmp_lt_f32_e32 vcc, v2, v4
	v_cndmask_b32_e32 v4, v4, v2, vcc
	v_mov_b32_e32 v6, 1
; %bb.508:
	s_or_b64 exec, exec, s[2:3]
	v_mov_b32_e32 v1, v6
	v_pk_mov_b32 v[2:3], v[4:5], v[4:5] op_sel:[0,1]
.LBB12_509:
	s_or_b64 exec, exec, s[0:1]
	v_and_b32_e32 v4, 0xff, v1
	v_mov_b32_dpp v5, v3 row_bcast:15 row_mask:0xf bank_mask:0xf bound_ctrl:1
	s_nop 0
	v_mov_b32_dpp v6, v4 row_bcast:15 row_mask:0xf bank_mask:0xf bound_ctrl:1
	v_and_b32_e32 v7, 1, v6
	v_mov_b32_dpp v4, v2 row_bcast:15 row_mask:0xf bank_mask:0xf bound_ctrl:1
	v_cmp_eq_u32_e32 vcc, 1, v7
	s_and_saveexec_b64 s[0:1], vcc
	s_cbranch_execz .LBB12_513
; %bb.510:
	v_and_b32_e32 v1, 1, v1
	v_cmp_eq_u32_e32 vcc, 1, v1
	s_and_saveexec_b64 s[2:3], vcc
; %bb.511:
	v_cmp_lt_f32_e32 vcc, v5, v3
	v_cndmask_b32_e32 v5, v5, v3, vcc
	v_cmp_lt_f32_e32 vcc, v2, v4
	v_cndmask_b32_e32 v4, v4, v2, vcc
	v_mov_b32_e32 v6, 1
; %bb.512:
	s_or_b64 exec, exec, s[2:3]
	v_mov_b32_e32 v1, v6
	v_pk_mov_b32 v[2:3], v[4:5], v[4:5] op_sel:[0,1]
.LBB12_513:
	s_or_b64 exec, exec, s[0:1]
	v_and_b32_e32 v4, 0xff, v1
	v_mov_b32_dpp v5, v3 row_bcast:31 row_mask:0xf bank_mask:0xf bound_ctrl:1
	s_nop 0
	v_mov_b32_dpp v6, v4 row_bcast:31 row_mask:0xf bank_mask:0xf bound_ctrl:1
	v_and_b32_e32 v7, 1, v6
	v_mov_b32_dpp v4, v2 row_bcast:31 row_mask:0xf bank_mask:0xf bound_ctrl:1
	v_cmp_eq_u32_e32 vcc, 1, v7
	s_and_saveexec_b64 s[0:1], vcc
	s_cbranch_execz .LBB12_517
; %bb.514:
	v_and_b32_e32 v1, 1, v1
	v_cmp_eq_u32_e32 vcc, 1, v1
	s_and_saveexec_b64 s[2:3], vcc
; %bb.515:
	v_cmp_lt_f32_e32 vcc, v5, v3
	v_cndmask_b32_e32 v5, v5, v3, vcc
	v_cmp_lt_f32_e32 vcc, v2, v4
	v_cndmask_b32_e32 v4, v4, v2, vcc
	v_mov_b32_e32 v6, 1
; %bb.516:
	s_or_b64 exec, exec, s[2:3]
	v_mov_b32_e32 v1, v6
	v_pk_mov_b32 v[2:3], v[4:5], v[4:5] op_sel:[0,1]
.LBB12_517:
	s_or_b64 exec, exec, s[0:1]
	v_mbcnt_lo_u32_b32 v4, -1, 0
	v_mbcnt_hi_u32_b32 v6, -1, v4
	v_bfrev_b32_e32 v4, 0.5
	v_and_b32_e32 v1, 0xff, v1
	v_lshl_or_b32 v4, v6, 2, v4
	ds_bpermute_b32 v8, v4, v1
	ds_bpermute_b32 v2, v4, v2
	;; [unrolled: 1-line block ×3, first 2 shown]
	v_cmp_eq_u32_e32 vcc, 0, v6
	s_and_saveexec_b64 s[0:1], vcc
	s_cbranch_execz .LBB12_519
; %bb.518:
	v_lshrrev_b32_e32 v1, 6, v0
	v_mul_u32_u24_e32 v1, 12, v1
	s_waitcnt lgkmcnt(2)
	ds_write_b8 v1, v8 offset:192
	s_waitcnt lgkmcnt(1)
	ds_write2_b32 v1, v2, v3 offset0:49 offset1:50
.LBB12_519:
	s_or_b64 exec, exec, s[0:1]
	v_cmp_gt_u32_e32 vcc, 64, v0
	s_waitcnt lgkmcnt(0)
	s_barrier
	s_and_saveexec_b64 s[0:1], vcc
	s_cbranch_execz .LBB12_529
; %bb.520:
	v_and_b32_e32 v7, 3, v6
	v_mul_u32_u24_e32 v1, 12, v7
	ds_read_u8 v8, v1 offset:192
	ds_read2_b32 v[2:3], v1 offset0:49 offset1:50
	v_cmp_ne_u32_e32 vcc, 3, v7
	v_addc_co_u32_e32 v1, vcc, 0, v6, vcc
	s_waitcnt lgkmcnt(1)
	v_and_b32_e32 v4, 0xff, v8
	v_lshlrev_b32_e32 v5, 2, v1
	ds_bpermute_b32 v1, v5, v4
	s_waitcnt lgkmcnt(1)
	ds_bpermute_b32 v4, v5, v2
	ds_bpermute_b32 v5, v5, v3
	v_and_b32_e32 v9, 1, v8
	v_cmp_eq_u32_e32 vcc, 1, v9
	s_and_saveexec_b64 s[2:3], vcc
	s_cbranch_execz .LBB12_524
; %bb.521:
	s_waitcnt lgkmcnt(2)
	v_and_b32_e32 v1, 1, v1
	v_cmp_eq_u32_e32 vcc, 1, v1
	s_and_saveexec_b64 s[10:11], vcc
	s_cbranch_execz .LBB12_523
; %bb.522:
	s_waitcnt lgkmcnt(0)
	v_cmp_gt_f32_e32 vcc, v5, v3
	v_cndmask_b32_e32 v3, v3, v5, vcc
	v_cmp_gt_f32_e32 vcc, v2, v4
	v_cndmask_b32_e32 v2, v2, v4, vcc
	v_mov_b32_e32 v8, 1
.LBB12_523:
	s_or_b64 exec, exec, s[10:11]
	v_mov_b32_e32 v1, v8
	s_waitcnt lgkmcnt(0)
	v_pk_mov_b32 v[4:5], v[2:3], v[2:3] op_sel:[0,1]
.LBB12_524:
	s_or_b64 exec, exec, s[2:3]
	v_cmp_gt_u32_e32 vcc, 2, v7
	v_cndmask_b32_e64 v3, 0, 1, vcc
	v_lshlrev_b32_e32 v3, 1, v3
	s_waitcnt lgkmcnt(2)
	v_and_b32_e32 v2, 0xff, v1
	v_add_lshl_u32 v3, v3, v6, 2
	ds_bpermute_b32 v6, v3, v2
	s_waitcnt lgkmcnt(2)
	ds_bpermute_b32 v2, v3, v4
	s_waitcnt lgkmcnt(2)
	ds_bpermute_b32 v3, v3, v5
	v_and_b32_e32 v7, 1, v1
	v_cmp_eq_u32_e32 vcc, 1, v7
	s_and_saveexec_b64 s[2:3], vcc
	s_cbranch_execz .LBB12_528
; %bb.525:
	s_waitcnt lgkmcnt(2)
	v_and_b32_e32 v6, 1, v6
	v_cmp_eq_u32_e32 vcc, 1, v6
	s_and_saveexec_b64 s[10:11], vcc
	s_cbranch_execz .LBB12_527
; %bb.526:
	s_waitcnt lgkmcnt(0)
	v_cmp_gt_f32_e32 vcc, v3, v5
	v_cndmask_b32_e32 v5, v5, v3, vcc
	v_cmp_gt_f32_e32 vcc, v4, v2
	v_cndmask_b32_e32 v4, v4, v2, vcc
	v_mov_b32_e32 v1, 1
.LBB12_527:
	s_or_b64 exec, exec, s[10:11]
	v_mov_b32_e32 v6, v1
	s_waitcnt lgkmcnt(0)
	v_pk_mov_b32 v[2:3], v[4:5], v[4:5] op_sel:[0,1]
.LBB12_528:
	s_or_b64 exec, exec, s[2:3]
	s_waitcnt lgkmcnt(2)
	v_and_b32_e32 v8, 0xff, v6
.LBB12_529:
	s_or_b64 exec, exec, s[0:1]
	s_branch .LBB12_612
.LBB12_530:
                                        ; implicit-def: $vgpr4_vgpr5
                                        ; implicit-def: $vgpr1
.LBB12_531:
	s_branch .LBB12_776
.LBB12_532:
                                        ; implicit-def: $vgpr2_vgpr3
                                        ; implicit-def: $vgpr8
	s_cbranch_execz .LBB12_612
; %bb.533:
	s_mov_b32 s0, 0
	s_sub_i32 s14, s38, s12
	s_mov_b32 s1, s0
	v_cmp_gt_u32_e32 vcc, s14, v0
	v_mov_b32_e32 v12, 0
	s_waitcnt lgkmcnt(0)
	v_pk_mov_b32 v[2:3], s[0:1], s[0:1] op_sel:[0,1]
	v_mov_b32_e32 v10, 0
	s_and_saveexec_b64 s[2:3], vcc
	s_cbranch_execz .LBB12_535
; %bb.534:
	v_mad_u64_u32 v[4:5], s[10:11], v0, 12, s[8:9]
	global_load_ubyte v10, v[4:5], off
	global_load_dwordx2 v[2:3], v[4:5], off offset:4
.LBB12_535:
	s_or_b64 exec, exec, s[2:3]
	v_or_b32_e32 v1, 0x100, v0
	v_cmp_gt_u32_e64 s[2:3], s14, v1
	v_pk_mov_b32 v[8:9], s[0:1], s[0:1] op_sel:[0,1]
	s_and_saveexec_b64 s[0:1], s[2:3]
	s_cbranch_execz .LBB12_537
; %bb.536:
	v_mad_u64_u32 v[4:5], s[10:11], v0, 12, s[8:9]
	global_load_ubyte v12, v[4:5], off offset:3072
	global_load_dwordx2 v[8:9], v[4:5], off offset:3076
.LBB12_537:
	s_or_b64 exec, exec, s[0:1]
	s_mov_b32 s10, 0
	v_or_b32_e32 v4, 0x200, v0
	s_mov_b32 s11, s10
	v_cmp_gt_u32_e64 s[0:1], s14, v4
	v_mov_b32_e32 v1, 0
	v_pk_mov_b32 v[6:7], s[10:11], s[10:11] op_sel:[0,1]
	v_mov_b32_e32 v11, 0
	s_and_saveexec_b64 s[12:13], s[0:1]
	s_cbranch_execz .LBB12_539
; %bb.538:
	v_mad_u64_u32 v[4:5], s[18:19], v4, 12, s[8:9]
	global_load_ubyte v11, v[4:5], off
	global_load_dwordx2 v[6:7], v[4:5], off offset:4
.LBB12_539:
	s_or_b64 exec, exec, s[12:13]
	v_or_b32_e32 v13, 0x300, v0
	v_cmp_gt_u32_e32 vcc, s14, v13
	v_pk_mov_b32 v[4:5], s[10:11], s[10:11] op_sel:[0,1]
	s_and_saveexec_b64 s[10:11], vcc
	s_cbranch_execnz .LBB12_543
; %bb.540:
	s_or_b64 exec, exec, s[10:11]
	s_and_saveexec_b64 s[8:9], s[2:3]
	s_cbranch_execnz .LBB12_544
.LBB12_541:
	s_or_b64 exec, exec, s[8:9]
	s_and_saveexec_b64 s[2:3], s[0:1]
	s_cbranch_execnz .LBB12_549
.LBB12_542:
	s_or_b64 exec, exec, s[2:3]
	s_and_saveexec_b64 s[0:1], vcc
	s_cbranch_execnz .LBB12_554
	s_branch .LBB12_559
.LBB12_543:
	v_mad_u64_u32 v[14:15], s[8:9], v13, 12, s[8:9]
	global_load_ubyte v1, v[14:15], off
	global_load_dwordx2 v[4:5], v[14:15], off offset:4
	s_or_b64 exec, exec, s[10:11]
	s_and_saveexec_b64 s[8:9], s[2:3]
	s_cbranch_execz .LBB12_541
.LBB12_544:
	s_waitcnt vmcnt(1)
	v_and_b32_e32 v13, 1, v10
	v_cmp_eq_u32_e64 s[2:3], 1, v13
	s_and_saveexec_b64 s[10:11], s[2:3]
	s_cbranch_execz .LBB12_548
; %bb.545:
	v_and_b32_e32 v12, 1, v12
	v_cmp_eq_u32_e64 s[2:3], 1, v12
	s_and_saveexec_b64 s[12:13], s[2:3]
	s_cbranch_execz .LBB12_547
; %bb.546:
	s_waitcnt vmcnt(0)
	v_cmp_lt_f32_e64 s[2:3], v3, v9
	v_cndmask_b32_e64 v3, v3, v9, s[2:3]
	v_cmp_lt_f32_e64 s[2:3], v8, v2
	v_cndmask_b32_e64 v2, v2, v8, s[2:3]
	v_mov_b32_e32 v10, 1
.LBB12_547:
	s_or_b64 exec, exec, s[12:13]
	s_waitcnt vmcnt(0)
	v_pk_mov_b32 v[8:9], v[2:3], v[2:3] op_sel:[0,1]
	v_mov_b32_e32 v12, v10
.LBB12_548:
	s_or_b64 exec, exec, s[10:11]
	v_mov_b32_e32 v10, v12
	s_waitcnt vmcnt(0)
	v_pk_mov_b32 v[2:3], v[8:9], v[8:9] op_sel:[0,1]
	s_or_b64 exec, exec, s[8:9]
	s_and_saveexec_b64 s[2:3], s[0:1]
	s_cbranch_execz .LBB12_542
.LBB12_549:
	s_waitcnt vmcnt(0)
	v_and_b32_e32 v8, 1, v10
	v_cmp_eq_u32_e64 s[0:1], 1, v8
	s_and_saveexec_b64 s[8:9], s[0:1]
	s_cbranch_execz .LBB12_553
; %bb.550:
	v_and_b32_e32 v8, 1, v11
	v_cmp_eq_u32_e64 s[0:1], 1, v8
	s_and_saveexec_b64 s[10:11], s[0:1]
; %bb.551:
	v_cmp_lt_f32_e64 s[0:1], v3, v7
	v_cndmask_b32_e64 v3, v3, v7, s[0:1]
	v_cmp_lt_f32_e64 s[0:1], v6, v2
	v_cndmask_b32_e64 v2, v2, v6, s[0:1]
	v_mov_b32_e32 v10, 1
; %bb.552:
	s_or_b64 exec, exec, s[10:11]
	v_pk_mov_b32 v[6:7], v[2:3], v[2:3] op_sel:[0,1]
	v_mov_b32_e32 v11, v10
.LBB12_553:
	s_or_b64 exec, exec, s[8:9]
	v_mov_b32_e32 v10, v11
	v_pk_mov_b32 v[2:3], v[6:7], v[6:7] op_sel:[0,1]
	s_or_b64 exec, exec, s[2:3]
	s_and_saveexec_b64 s[0:1], vcc
	s_cbranch_execz .LBB12_559
.LBB12_554:
	s_waitcnt vmcnt(0)
	v_and_b32_e32 v6, 1, v10
	v_cmp_eq_u32_e32 vcc, 1, v6
	s_and_saveexec_b64 s[2:3], vcc
	s_cbranch_execz .LBB12_558
; %bb.555:
	v_and_b32_e32 v1, 1, v1
	v_cmp_eq_u32_e32 vcc, 1, v1
	s_and_saveexec_b64 s[8:9], vcc
; %bb.556:
	v_cmp_lt_f32_e32 vcc, v3, v5
	v_cndmask_b32_e32 v3, v3, v5, vcc
	v_cmp_lt_f32_e32 vcc, v4, v2
	v_cndmask_b32_e32 v2, v2, v4, vcc
	v_mov_b32_e32 v10, 1
; %bb.557:
	s_or_b64 exec, exec, s[8:9]
	v_pk_mov_b32 v[4:5], v[2:3], v[2:3] op_sel:[0,1]
	v_mov_b32_e32 v1, v10
.LBB12_558:
	s_or_b64 exec, exec, s[2:3]
	v_mov_b32_e32 v10, v1
	v_pk_mov_b32 v[2:3], v[4:5], v[4:5] op_sel:[0,1]
.LBB12_559:
	s_or_b64 exec, exec, s[0:1]
	s_waitcnt vmcnt(1)
	v_mbcnt_lo_u32_b32 v1, -1, 0
	v_mbcnt_hi_u32_b32 v1, -1, v1
	s_waitcnt vmcnt(0)
	v_and_b32_e32 v7, 63, v1
	s_min_u32 s10, s14, 0x100
	v_and_b32_e32 v4, 0xc0, v0
	v_cmp_ne_u32_e32 vcc, 63, v7
	v_sub_u32_e64 v6, s10, v4 clamp
	v_addc_co_u32_e32 v4, vcc, 0, v1, vcc
	v_and_b32_e32 v9, 0xff, v10
	v_lshlrev_b32_e32 v5, 2, v4
	ds_bpermute_b32 v13, v5, v9
	ds_bpermute_b32 v4, v5, v2
	;; [unrolled: 1-line block ×3, first 2 shown]
	v_add_u32_e32 v8, 1, v7
	v_cmp_lt_u32_e32 vcc, v8, v6
	v_mov_b32_e32 v8, v9
	v_mov_b32_e32 v11, v2
	v_mov_b32_e32 v12, v3
	s_and_saveexec_b64 s[0:1], vcc
	s_xor_b64 s[0:1], exec, s[0:1]
	s_cbranch_execz .LBB12_565
; %bb.560:
	v_and_b32_e32 v8, 1, v10
	v_cmp_eq_u32_e32 vcc, 1, v8
	s_and_saveexec_b64 s[2:3], vcc
	s_cbranch_execz .LBB12_564
; %bb.561:
	s_waitcnt lgkmcnt(2)
	v_and_b32_e32 v8, 1, v13
	v_cmp_eq_u32_e32 vcc, 1, v8
	s_and_saveexec_b64 s[8:9], vcc
	s_cbranch_execz .LBB12_563
; %bb.562:
	s_waitcnt lgkmcnt(0)
	v_cmp_lt_f32_e32 vcc, v3, v5
	v_cndmask_b32_e32 v3, v3, v5, vcc
	v_cmp_gt_f32_e32 vcc, v2, v4
	v_cndmask_b32_e32 v2, v2, v4, vcc
	v_mov_b32_e32 v9, 1
.LBB12_563:
	s_or_b64 exec, exec, s[8:9]
	v_mov_b32_e32 v13, v9
	s_waitcnt lgkmcnt(0)
	v_pk_mov_b32 v[4:5], v[2:3], v[2:3] op_sel:[0,1]
.LBB12_564:
	s_or_b64 exec, exec, s[2:3]
	s_waitcnt lgkmcnt(2)
	v_and_b32_e32 v8, 0xff, v13
	s_waitcnt lgkmcnt(0)
	v_pk_mov_b32 v[2:3], v[4:5], v[4:5] op_sel:[0,1]
	v_mov_b32_e32 v9, v13
	v_mov_b32_e32 v11, v4
	;; [unrolled: 1-line block ×3, first 2 shown]
.LBB12_565:
	s_or_b64 exec, exec, s[0:1]
	v_cmp_gt_u32_e32 vcc, 62, v7
	s_waitcnt lgkmcnt(1)
	v_cndmask_b32_e64 v4, 0, 1, vcc
	v_lshlrev_b32_e32 v4, 1, v4
	s_waitcnt lgkmcnt(0)
	v_add_lshl_u32 v5, v4, v1, 2
	ds_bpermute_b32 v10, v5, v8
	ds_bpermute_b32 v4, v5, v11
	;; [unrolled: 1-line block ×3, first 2 shown]
	v_add_u32_e32 v13, 2, v7
	v_cmp_lt_u32_e32 vcc, v13, v6
	s_and_saveexec_b64 s[0:1], vcc
	s_cbranch_execz .LBB12_571
; %bb.566:
	v_and_b32_e32 v8, 1, v9
	v_cmp_eq_u32_e32 vcc, 1, v8
	s_and_saveexec_b64 s[2:3], vcc
	s_cbranch_execz .LBB12_570
; %bb.567:
	s_waitcnt lgkmcnt(2)
	v_and_b32_e32 v8, 1, v10
	v_cmp_eq_u32_e32 vcc, 1, v8
	s_and_saveexec_b64 s[8:9], vcc
	s_cbranch_execz .LBB12_569
; %bb.568:
	s_waitcnt lgkmcnt(0)
	v_cmp_lt_f32_e32 vcc, v3, v5
	v_cndmask_b32_e32 v3, v3, v5, vcc
	v_cmp_lt_f32_e32 vcc, v4, v2
	v_cndmask_b32_e32 v2, v2, v4, vcc
	v_mov_b32_e32 v9, 1
.LBB12_569:
	s_or_b64 exec, exec, s[8:9]
	v_mov_b32_e32 v10, v9
	s_waitcnt lgkmcnt(0)
	v_pk_mov_b32 v[4:5], v[2:3], v[2:3] op_sel:[0,1]
.LBB12_570:
	s_or_b64 exec, exec, s[2:3]
	s_waitcnt lgkmcnt(2)
	v_and_b32_e32 v8, 0xff, v10
	s_waitcnt lgkmcnt(0)
	v_pk_mov_b32 v[2:3], v[4:5], v[4:5] op_sel:[0,1]
	v_mov_b32_e32 v9, v10
	v_mov_b32_e32 v11, v4
	;; [unrolled: 1-line block ×3, first 2 shown]
.LBB12_571:
	s_or_b64 exec, exec, s[0:1]
	v_cmp_gt_u32_e32 vcc, 60, v7
	s_waitcnt lgkmcnt(1)
	v_cndmask_b32_e64 v4, 0, 1, vcc
	v_lshlrev_b32_e32 v4, 2, v4
	s_waitcnt lgkmcnt(0)
	v_add_lshl_u32 v5, v4, v1, 2
	ds_bpermute_b32 v10, v5, v8
	ds_bpermute_b32 v4, v5, v11
	;; [unrolled: 1-line block ×3, first 2 shown]
	v_add_u32_e32 v13, 4, v7
	v_cmp_lt_u32_e32 vcc, v13, v6
	s_and_saveexec_b64 s[0:1], vcc
	s_cbranch_execz .LBB12_577
; %bb.572:
	v_and_b32_e32 v8, 1, v9
	v_cmp_eq_u32_e32 vcc, 1, v8
	s_and_saveexec_b64 s[2:3], vcc
	s_cbranch_execz .LBB12_576
; %bb.573:
	s_waitcnt lgkmcnt(2)
	v_and_b32_e32 v8, 1, v10
	v_cmp_eq_u32_e32 vcc, 1, v8
	s_and_saveexec_b64 s[8:9], vcc
	s_cbranch_execz .LBB12_575
; %bb.574:
	s_waitcnt lgkmcnt(0)
	v_cmp_lt_f32_e32 vcc, v3, v5
	v_cndmask_b32_e32 v3, v3, v5, vcc
	v_cmp_lt_f32_e32 vcc, v4, v2
	v_cndmask_b32_e32 v2, v2, v4, vcc
	v_mov_b32_e32 v9, 1
.LBB12_575:
	s_or_b64 exec, exec, s[8:9]
	v_mov_b32_e32 v10, v9
	s_waitcnt lgkmcnt(0)
	v_pk_mov_b32 v[4:5], v[2:3], v[2:3] op_sel:[0,1]
.LBB12_576:
	s_or_b64 exec, exec, s[2:3]
	s_waitcnt lgkmcnt(2)
	v_and_b32_e32 v8, 0xff, v10
	s_waitcnt lgkmcnt(0)
	v_pk_mov_b32 v[2:3], v[4:5], v[4:5] op_sel:[0,1]
	v_mov_b32_e32 v9, v10
	v_mov_b32_e32 v11, v4
	;; [unrolled: 1-line block ×3, first 2 shown]
.LBB12_577:
	s_or_b64 exec, exec, s[0:1]
	v_cmp_gt_u32_e32 vcc, 56, v7
	s_waitcnt lgkmcnt(1)
	v_cndmask_b32_e64 v4, 0, 1, vcc
	v_lshlrev_b32_e32 v4, 3, v4
	s_waitcnt lgkmcnt(0)
	v_add_lshl_u32 v5, v4, v1, 2
	ds_bpermute_b32 v10, v5, v8
	ds_bpermute_b32 v4, v5, v11
	;; [unrolled: 1-line block ×3, first 2 shown]
	v_add_u32_e32 v13, 8, v7
	v_cmp_lt_u32_e32 vcc, v13, v6
	s_and_saveexec_b64 s[0:1], vcc
	s_cbranch_execz .LBB12_583
; %bb.578:
	v_and_b32_e32 v8, 1, v9
	v_cmp_eq_u32_e32 vcc, 1, v8
	s_and_saveexec_b64 s[2:3], vcc
	s_cbranch_execz .LBB12_582
; %bb.579:
	s_waitcnt lgkmcnt(2)
	v_and_b32_e32 v8, 1, v10
	v_cmp_eq_u32_e32 vcc, 1, v8
	s_and_saveexec_b64 s[8:9], vcc
	s_cbranch_execz .LBB12_581
; %bb.580:
	s_waitcnt lgkmcnt(0)
	v_cmp_gt_f32_e32 vcc, v5, v3
	v_cndmask_b32_e32 v3, v3, v5, vcc
	v_cmp_gt_f32_e32 vcc, v2, v4
	v_cndmask_b32_e32 v2, v2, v4, vcc
	v_mov_b32_e32 v9, 1
.LBB12_581:
	s_or_b64 exec, exec, s[8:9]
	v_mov_b32_e32 v10, v9
	s_waitcnt lgkmcnt(0)
	v_pk_mov_b32 v[4:5], v[2:3], v[2:3] op_sel:[0,1]
.LBB12_582:
	s_or_b64 exec, exec, s[2:3]
	s_waitcnt lgkmcnt(2)
	v_and_b32_e32 v8, 0xff, v10
	s_waitcnt lgkmcnt(0)
	v_pk_mov_b32 v[2:3], v[4:5], v[4:5] op_sel:[0,1]
	v_mov_b32_e32 v9, v10
	v_mov_b32_e32 v11, v4
	;; [unrolled: 1-line block ×3, first 2 shown]
.LBB12_583:
	s_or_b64 exec, exec, s[0:1]
	v_cmp_gt_u32_e32 vcc, 48, v7
	s_waitcnt lgkmcnt(1)
	v_cndmask_b32_e64 v4, 0, 1, vcc
	v_lshlrev_b32_e32 v4, 4, v4
	s_waitcnt lgkmcnt(0)
	v_add_lshl_u32 v5, v4, v1, 2
	ds_bpermute_b32 v10, v5, v8
	ds_bpermute_b32 v4, v5, v11
	;; [unrolled: 1-line block ×3, first 2 shown]
	v_add_u32_e32 v13, 16, v7
	v_cmp_lt_u32_e32 vcc, v13, v6
	s_and_saveexec_b64 s[0:1], vcc
	s_cbranch_execz .LBB12_589
; %bb.584:
	v_and_b32_e32 v8, 1, v9
	v_cmp_eq_u32_e32 vcc, 1, v8
	s_and_saveexec_b64 s[2:3], vcc
	s_cbranch_execz .LBB12_588
; %bb.585:
	s_waitcnt lgkmcnt(2)
	v_and_b32_e32 v8, 1, v10
	v_cmp_eq_u32_e32 vcc, 1, v8
	s_and_saveexec_b64 s[8:9], vcc
	s_cbranch_execz .LBB12_587
; %bb.586:
	s_waitcnt lgkmcnt(0)
	v_cmp_gt_f32_e32 vcc, v5, v3
	v_cndmask_b32_e32 v3, v3, v5, vcc
	v_cmp_gt_f32_e32 vcc, v2, v4
	v_cndmask_b32_e32 v2, v2, v4, vcc
	v_mov_b32_e32 v9, 1
.LBB12_587:
	s_or_b64 exec, exec, s[8:9]
	v_mov_b32_e32 v10, v9
	s_waitcnt lgkmcnt(0)
	v_pk_mov_b32 v[4:5], v[2:3], v[2:3] op_sel:[0,1]
.LBB12_588:
	s_or_b64 exec, exec, s[2:3]
	s_waitcnt lgkmcnt(2)
	v_and_b32_e32 v8, 0xff, v10
	s_waitcnt lgkmcnt(0)
	v_pk_mov_b32 v[2:3], v[4:5], v[4:5] op_sel:[0,1]
	v_mov_b32_e32 v9, v10
	v_mov_b32_e32 v11, v4
	v_mov_b32_e32 v12, v5
.LBB12_589:
	s_or_b64 exec, exec, s[0:1]
	v_cmp_gt_u32_e32 vcc, 32, v7
	s_waitcnt lgkmcnt(1)
	v_cndmask_b32_e64 v4, 0, 1, vcc
	v_lshlrev_b32_e32 v4, 5, v4
	s_waitcnt lgkmcnt(0)
	v_add_lshl_u32 v5, v4, v1, 2
	ds_bpermute_b32 v10, v5, v8
	ds_bpermute_b32 v4, v5, v11
	ds_bpermute_b32 v5, v5, v12
	v_add_u32_e32 v7, 32, v7
	v_cmp_lt_u32_e32 vcc, v7, v6
	s_and_saveexec_b64 s[0:1], vcc
	s_cbranch_execz .LBB12_595
; %bb.590:
	v_and_b32_e32 v6, 1, v9
	v_cmp_eq_u32_e32 vcc, 1, v6
	s_and_saveexec_b64 s[2:3], vcc
	s_cbranch_execz .LBB12_594
; %bb.591:
	s_waitcnt lgkmcnt(2)
	v_and_b32_e32 v6, 1, v10
	v_cmp_eq_u32_e32 vcc, 1, v6
	s_and_saveexec_b64 s[8:9], vcc
	s_cbranch_execz .LBB12_593
; %bb.592:
	s_waitcnt lgkmcnt(0)
	v_cmp_gt_f32_e32 vcc, v5, v3
	v_cndmask_b32_e32 v3, v3, v5, vcc
	v_cmp_gt_f32_e32 vcc, v2, v4
	v_cndmask_b32_e32 v2, v2, v4, vcc
	v_mov_b32_e32 v9, 1
.LBB12_593:
	s_or_b64 exec, exec, s[8:9]
	v_mov_b32_e32 v10, v9
	s_waitcnt lgkmcnt(0)
	v_pk_mov_b32 v[4:5], v[2:3], v[2:3] op_sel:[0,1]
.LBB12_594:
	s_or_b64 exec, exec, s[2:3]
	s_waitcnt lgkmcnt(2)
	v_and_b32_e32 v8, 0xff, v10
	s_waitcnt lgkmcnt(0)
	v_pk_mov_b32 v[2:3], v[4:5], v[4:5] op_sel:[0,1]
	v_mov_b32_e32 v9, v10
.LBB12_595:
	s_or_b64 exec, exec, s[0:1]
	v_cmp_eq_u32_e32 vcc, 0, v1
	s_and_saveexec_b64 s[0:1], vcc
	s_cbranch_execz .LBB12_597
; %bb.596:
	s_waitcnt lgkmcnt(1)
	v_lshrrev_b32_e32 v4, 6, v0
	v_mul_u32_u24_e32 v4, 12, v4
	ds_write_b8 v4, v9
	ds_write2_b32 v4, v2, v3 offset0:1 offset1:2
.LBB12_597:
	s_or_b64 exec, exec, s[0:1]
	v_cmp_gt_u32_e32 vcc, 4, v0
	s_waitcnt lgkmcnt(0)
	s_barrier
	s_and_saveexec_b64 s[0:1], vcc
	s_cbranch_execz .LBB12_611
; %bb.598:
	v_mul_u32_u24_e32 v2, 12, v1
	ds_read_u8 v6, v2
	ds_read2_b32 v[2:3], v2 offset0:1 offset1:2
	v_and_b32_e32 v7, 3, v1
	v_cmp_ne_u32_e32 vcc, 3, v7
	v_addc_co_u32_e32 v4, vcc, 0, v1, vcc
	s_waitcnt lgkmcnt(1)
	v_and_b32_e32 v8, 0xff, v6
	v_lshlrev_b32_e32 v5, 2, v4
	ds_bpermute_b32 v9, v5, v8
	s_waitcnt lgkmcnt(1)
	ds_bpermute_b32 v4, v5, v2
	ds_bpermute_b32 v5, v5, v3
	s_add_i32 s10, s10, 63
	s_lshr_b32 s12, s10, 6
	v_add_u32_e32 v10, 1, v7
	v_cmp_gt_u32_e32 vcc, s12, v10
	v_mov_b32_e32 v10, v2
	v_mov_b32_e32 v11, v3
	s_and_saveexec_b64 s[2:3], vcc
	s_cbranch_execz .LBB12_604
; %bb.599:
	v_and_b32_e32 v8, 1, v6
	v_cmp_eq_u32_e32 vcc, 1, v8
	s_and_saveexec_b64 s[8:9], vcc
	s_cbranch_execz .LBB12_603
; %bb.600:
	s_waitcnt lgkmcnt(2)
	v_and_b32_e32 v8, 1, v9
	v_cmp_eq_u32_e32 vcc, 1, v8
	s_and_saveexec_b64 s[10:11], vcc
	s_cbranch_execz .LBB12_602
; %bb.601:
	s_waitcnt lgkmcnt(0)
	v_cmp_gt_f32_e32 vcc, v5, v3
	v_cndmask_b32_e32 v3, v3, v5, vcc
	v_cmp_gt_f32_e32 vcc, v2, v4
	v_cndmask_b32_e32 v2, v2, v4, vcc
	v_mov_b32_e32 v6, 1
.LBB12_602:
	s_or_b64 exec, exec, s[10:11]
	v_mov_b32_e32 v9, v6
	s_waitcnt lgkmcnt(0)
	v_pk_mov_b32 v[4:5], v[2:3], v[2:3] op_sel:[0,1]
.LBB12_603:
	s_or_b64 exec, exec, s[8:9]
	s_waitcnt lgkmcnt(2)
	v_and_b32_e32 v8, 0xff, v9
	s_waitcnt lgkmcnt(0)
	v_pk_mov_b32 v[2:3], v[4:5], v[4:5] op_sel:[0,1]
	v_mov_b32_e32 v6, v9
	v_mov_b32_e32 v10, v4
	;; [unrolled: 1-line block ×3, first 2 shown]
.LBB12_604:
	s_or_b64 exec, exec, s[2:3]
	v_cmp_gt_u32_e32 vcc, 2, v7
	s_waitcnt lgkmcnt(1)
	v_cndmask_b32_e64 v4, 0, 1, vcc
	v_lshlrev_b32_e32 v4, 1, v4
	s_waitcnt lgkmcnt(0)
	v_add_lshl_u32 v5, v4, v1, 2
	ds_bpermute_b32 v1, v5, v8
	ds_bpermute_b32 v4, v5, v10
	;; [unrolled: 1-line block ×3, first 2 shown]
	v_add_u32_e32 v7, 2, v7
	v_cmp_gt_u32_e32 vcc, s12, v7
	s_and_saveexec_b64 s[2:3], vcc
	s_cbranch_execz .LBB12_610
; %bb.605:
	v_and_b32_e32 v7, 1, v6
	v_cmp_eq_u32_e32 vcc, 1, v7
	s_and_saveexec_b64 s[8:9], vcc
	s_cbranch_execz .LBB12_609
; %bb.606:
	s_waitcnt lgkmcnt(2)
	v_and_b32_e32 v1, 1, v1
	v_cmp_eq_u32_e32 vcc, 1, v1
	s_and_saveexec_b64 s[10:11], vcc
	s_cbranch_execz .LBB12_608
; %bb.607:
	s_waitcnt lgkmcnt(0)
	v_cmp_gt_f32_e32 vcc, v5, v3
	v_cndmask_b32_e32 v3, v3, v5, vcc
	v_cmp_gt_f32_e32 vcc, v2, v4
	v_cndmask_b32_e32 v2, v2, v4, vcc
	v_mov_b32_e32 v6, 1
.LBB12_608:
	s_or_b64 exec, exec, s[10:11]
	v_mov_b32_e32 v1, v6
	s_waitcnt lgkmcnt(0)
	v_pk_mov_b32 v[4:5], v[2:3], v[2:3] op_sel:[0,1]
.LBB12_609:
	s_or_b64 exec, exec, s[8:9]
	s_waitcnt lgkmcnt(2)
	v_and_b32_e32 v8, 0xff, v1
	s_waitcnt lgkmcnt(0)
	v_pk_mov_b32 v[2:3], v[4:5], v[4:5] op_sel:[0,1]
.LBB12_610:
	s_or_b64 exec, exec, s[2:3]
.LBB12_611:
	s_or_b64 exec, exec, s[0:1]
.LBB12_612:
	v_cmp_eq_u32_e32 vcc, 0, v0
                                        ; implicit-def: $vgpr4_vgpr5
                                        ; implicit-def: $vgpr1
	s_and_saveexec_b64 s[0:1], vcc
	s_xor_b64 s[8:9], exec, s[0:1]
	s_cbranch_execz .LBB12_618
; %bb.613:
	s_cmp_eq_u64 s[38:39], 0
	s_waitcnt lgkmcnt(0)
	v_pk_mov_b32 v[4:5], s[34:35], s[34:35] op_sel:[0,1]
	v_mov_b32_e32 v1, s33
	s_cbranch_scc1 .LBB12_617
; %bb.614:
	s_bitcmp0_b32 s33, 0
	s_cbranch_scc1 .LBB12_616
; %bb.615:
	v_and_b32_e32 v1, 1, v8
	v_cmp_lt_f32_e32 vcc, s35, v3
	v_cmp_eq_u32_e64 s[2:3], 1, v1
	v_cmp_gt_f32_e64 s[0:1], s34, v2
	v_mov_b32_e32 v1, s35
	s_and_b64 vcc, s[2:3], vcc
	v_mov_b32_e32 v4, s33
	v_cndmask_b32_e32 v3, v1, v3, vcc
	v_mov_b32_e32 v1, s34
	s_and_b64 vcc, s[2:3], s[0:1]
	v_cndmask_b32_e64 v8, v4, 1, s[2:3]
	v_cndmask_b32_e32 v2, v1, v2, vcc
.LBB12_616:
	v_pk_mov_b32 v[4:5], v[2:3], v[2:3] op_sel:[0,1]
	v_mov_b32_e32 v1, v8
.LBB12_617:
	s_or_b64 s[16:17], s[16:17], exec
.LBB12_618:
	s_or_b64 exec, exec, s[8:9]
	s_branch .LBB12_776
.LBB12_619:
	s_cmp_gt_i32 s48, 1
	s_cbranch_scc0 .LBB12_663
; %bb.620:
	s_cmp_eq_u32 s48, 2
	s_cbranch_scc0 .LBB12_664
; %bb.621:
	s_lshl_b32 s12, s6, 9
	s_lshr_b64 s[2:3], s[38:39], 9
	s_mul_i32 s0, s6, 0x1800
	s_mul_hi_u32 s1, s12, 12
	s_add_u32 s0, s36, s0
	s_mov_b32 s7, 0
	s_addc_u32 s1, s37, s1
	s_cmp_lg_u64 s[2:3], s[6:7]
	s_cbranch_scc0 .LBB12_665
; %bb.622:
	s_waitcnt lgkmcnt(0)
	v_mad_u64_u32 v[4:5], s[2:3], v0, 12, s[0:1]
	global_load_ubyte v6, v[4:5], off
	global_load_ubyte v1, v[4:5], off offset:3072
	global_load_dwordx2 v[2:3], v[4:5], off offset:3076
	s_waitcnt vmcnt(2)
	v_and_b32_e32 v7, 1, v6
	v_cmp_eq_u32_e32 vcc, 1, v7
	s_and_saveexec_b64 s[2:3], vcc
	s_cbranch_execz .LBB12_626
; %bb.623:
	global_load_dwordx2 v[4:5], v[4:5], off offset:4
	s_waitcnt vmcnt(2)
	v_and_b32_e32 v1, 1, v1
	v_cmp_eq_u32_e32 vcc, 1, v1
	s_and_saveexec_b64 s[8:9], vcc
	s_cbranch_execz .LBB12_625
; %bb.624:
	s_waitcnt vmcnt(0)
	v_cmp_lt_f32_e32 vcc, v5, v3
	v_cndmask_b32_e32 v5, v5, v3, vcc
	v_cmp_lt_f32_e32 vcc, v2, v4
	v_cndmask_b32_e32 v4, v4, v2, vcc
	v_mov_b32_e32 v6, 1
.LBB12_625:
	s_or_b64 exec, exec, s[8:9]
	v_mov_b32_e32 v1, v6
	s_waitcnt vmcnt(0)
	v_pk_mov_b32 v[2:3], v[4:5], v[4:5] op_sel:[0,1]
.LBB12_626:
	s_or_b64 exec, exec, s[2:3]
	s_waitcnt vmcnt(1)
	v_and_b32_e32 v4, 0xff, v1
	s_waitcnt vmcnt(0)
	v_mov_b32_dpp v5, v3 quad_perm:[1,0,3,2] row_mask:0xf bank_mask:0xf bound_ctrl:1
	v_mov_b32_dpp v6, v4 quad_perm:[1,0,3,2] row_mask:0xf bank_mask:0xf bound_ctrl:1
	v_and_b32_e32 v7, 1, v6
	v_mov_b32_dpp v4, v2 quad_perm:[1,0,3,2] row_mask:0xf bank_mask:0xf bound_ctrl:1
	v_cmp_eq_u32_e32 vcc, 1, v7
	s_and_saveexec_b64 s[2:3], vcc
	s_cbranch_execz .LBB12_630
; %bb.627:
	v_and_b32_e32 v1, 1, v1
	v_cmp_eq_u32_e32 vcc, 1, v1
	s_and_saveexec_b64 s[8:9], vcc
; %bb.628:
	v_cmp_gt_f32_e32 vcc, v3, v5
	v_cndmask_b32_e32 v5, v5, v3, vcc
	v_cmp_lt_f32_e32 vcc, v2, v4
	v_cndmask_b32_e32 v4, v4, v2, vcc
	v_mov_b32_e32 v6, 1
; %bb.629:
	s_or_b64 exec, exec, s[8:9]
	v_mov_b32_e32 v1, v6
	v_pk_mov_b32 v[2:3], v[4:5], v[4:5] op_sel:[0,1]
.LBB12_630:
	s_or_b64 exec, exec, s[2:3]
	v_and_b32_e32 v4, 0xff, v1
	v_mov_b32_dpp v5, v3 quad_perm:[2,3,0,1] row_mask:0xf bank_mask:0xf bound_ctrl:1
	s_nop 0
	v_mov_b32_dpp v6, v4 quad_perm:[2,3,0,1] row_mask:0xf bank_mask:0xf bound_ctrl:1
	v_and_b32_e32 v7, 1, v6
	v_mov_b32_dpp v4, v2 quad_perm:[2,3,0,1] row_mask:0xf bank_mask:0xf bound_ctrl:1
	v_cmp_eq_u32_e32 vcc, 1, v7
	s_and_saveexec_b64 s[2:3], vcc
	s_cbranch_execz .LBB12_634
; %bb.631:
	v_and_b32_e32 v1, 1, v1
	v_cmp_eq_u32_e32 vcc, 1, v1
	s_and_saveexec_b64 s[8:9], vcc
; %bb.632:
	v_cmp_lt_f32_e32 vcc, v5, v3
	v_cndmask_b32_e32 v5, v5, v3, vcc
	v_cmp_lt_f32_e32 vcc, v2, v4
	v_cndmask_b32_e32 v4, v4, v2, vcc
	v_mov_b32_e32 v6, 1
; %bb.633:
	s_or_b64 exec, exec, s[8:9]
	v_mov_b32_e32 v1, v6
	v_pk_mov_b32 v[2:3], v[4:5], v[4:5] op_sel:[0,1]
.LBB12_634:
	s_or_b64 exec, exec, s[2:3]
	v_and_b32_e32 v4, 0xff, v1
	v_mov_b32_dpp v5, v3 row_ror:4 row_mask:0xf bank_mask:0xf bound_ctrl:1
	s_nop 0
	v_mov_b32_dpp v6, v4 row_ror:4 row_mask:0xf bank_mask:0xf bound_ctrl:1
	v_and_b32_e32 v7, 1, v6
	v_mov_b32_dpp v4, v2 row_ror:4 row_mask:0xf bank_mask:0xf bound_ctrl:1
	v_cmp_eq_u32_e32 vcc, 1, v7
	s_and_saveexec_b64 s[2:3], vcc
	s_cbranch_execz .LBB12_638
; %bb.635:
	v_and_b32_e32 v1, 1, v1
	v_cmp_eq_u32_e32 vcc, 1, v1
	s_and_saveexec_b64 s[8:9], vcc
; %bb.636:
	v_cmp_lt_f32_e32 vcc, v5, v3
	v_cndmask_b32_e32 v5, v5, v3, vcc
	v_cmp_lt_f32_e32 vcc, v2, v4
	v_cndmask_b32_e32 v4, v4, v2, vcc
	v_mov_b32_e32 v6, 1
; %bb.637:
	s_or_b64 exec, exec, s[8:9]
	v_mov_b32_e32 v1, v6
	v_pk_mov_b32 v[2:3], v[4:5], v[4:5] op_sel:[0,1]
.LBB12_638:
	s_or_b64 exec, exec, s[2:3]
	v_and_b32_e32 v4, 0xff, v1
	v_mov_b32_dpp v5, v3 row_ror:8 row_mask:0xf bank_mask:0xf bound_ctrl:1
	s_nop 0
	v_mov_b32_dpp v6, v4 row_ror:8 row_mask:0xf bank_mask:0xf bound_ctrl:1
	v_and_b32_e32 v7, 1, v6
	v_mov_b32_dpp v4, v2 row_ror:8 row_mask:0xf bank_mask:0xf bound_ctrl:1
	v_cmp_eq_u32_e32 vcc, 1, v7
	s_and_saveexec_b64 s[2:3], vcc
	s_cbranch_execz .LBB12_642
; %bb.639:
	v_and_b32_e32 v1, 1, v1
	v_cmp_eq_u32_e32 vcc, 1, v1
	s_and_saveexec_b64 s[8:9], vcc
; %bb.640:
	v_cmp_lt_f32_e32 vcc, v5, v3
	v_cndmask_b32_e32 v5, v5, v3, vcc
	v_cmp_lt_f32_e32 vcc, v2, v4
	v_cndmask_b32_e32 v4, v4, v2, vcc
	v_mov_b32_e32 v6, 1
; %bb.641:
	s_or_b64 exec, exec, s[8:9]
	v_mov_b32_e32 v1, v6
	v_pk_mov_b32 v[2:3], v[4:5], v[4:5] op_sel:[0,1]
.LBB12_642:
	s_or_b64 exec, exec, s[2:3]
	v_and_b32_e32 v4, 0xff, v1
	v_mov_b32_dpp v5, v3 row_bcast:15 row_mask:0xf bank_mask:0xf bound_ctrl:1
	s_nop 0
	v_mov_b32_dpp v6, v4 row_bcast:15 row_mask:0xf bank_mask:0xf bound_ctrl:1
	v_and_b32_e32 v7, 1, v6
	v_mov_b32_dpp v4, v2 row_bcast:15 row_mask:0xf bank_mask:0xf bound_ctrl:1
	v_cmp_eq_u32_e32 vcc, 1, v7
	s_and_saveexec_b64 s[2:3], vcc
	s_cbranch_execz .LBB12_646
; %bb.643:
	v_and_b32_e32 v1, 1, v1
	v_cmp_eq_u32_e32 vcc, 1, v1
	s_and_saveexec_b64 s[8:9], vcc
; %bb.644:
	v_cmp_lt_f32_e32 vcc, v5, v3
	v_cndmask_b32_e32 v5, v5, v3, vcc
	v_cmp_lt_f32_e32 vcc, v2, v4
	v_cndmask_b32_e32 v4, v4, v2, vcc
	v_mov_b32_e32 v6, 1
; %bb.645:
	s_or_b64 exec, exec, s[8:9]
	v_mov_b32_e32 v1, v6
	v_pk_mov_b32 v[2:3], v[4:5], v[4:5] op_sel:[0,1]
.LBB12_646:
	s_or_b64 exec, exec, s[2:3]
	v_and_b32_e32 v4, 0xff, v1
	v_mov_b32_dpp v5, v3 row_bcast:31 row_mask:0xf bank_mask:0xf bound_ctrl:1
	s_nop 0
	v_mov_b32_dpp v6, v4 row_bcast:31 row_mask:0xf bank_mask:0xf bound_ctrl:1
	v_and_b32_e32 v7, 1, v6
	v_mov_b32_dpp v4, v2 row_bcast:31 row_mask:0xf bank_mask:0xf bound_ctrl:1
	v_cmp_eq_u32_e32 vcc, 1, v7
	s_and_saveexec_b64 s[2:3], vcc
	s_cbranch_execz .LBB12_650
; %bb.647:
	v_and_b32_e32 v1, 1, v1
	v_cmp_eq_u32_e32 vcc, 1, v1
	s_and_saveexec_b64 s[8:9], vcc
; %bb.648:
	v_cmp_lt_f32_e32 vcc, v5, v3
	v_cndmask_b32_e32 v5, v5, v3, vcc
	v_cmp_lt_f32_e32 vcc, v2, v4
	v_cndmask_b32_e32 v4, v4, v2, vcc
	v_mov_b32_e32 v6, 1
; %bb.649:
	s_or_b64 exec, exec, s[8:9]
	v_mov_b32_e32 v1, v6
	v_pk_mov_b32 v[2:3], v[4:5], v[4:5] op_sel:[0,1]
.LBB12_650:
	s_or_b64 exec, exec, s[2:3]
	v_mbcnt_lo_u32_b32 v4, -1, 0
	v_mbcnt_hi_u32_b32 v6, -1, v4
	v_bfrev_b32_e32 v4, 0.5
	v_and_b32_e32 v1, 0xff, v1
	v_lshl_or_b32 v4, v6, 2, v4
	ds_bpermute_b32 v9, v4, v1
	ds_bpermute_b32 v2, v4, v2
	;; [unrolled: 1-line block ×3, first 2 shown]
	v_cmp_eq_u32_e32 vcc, 0, v6
	s_and_saveexec_b64 s[2:3], vcc
	s_cbranch_execz .LBB12_652
; %bb.651:
	v_lshrrev_b32_e32 v1, 6, v0
	v_mul_u32_u24_e32 v1, 12, v1
	s_waitcnt lgkmcnt(2)
	ds_write_b8 v1, v9 offset:144
	s_waitcnt lgkmcnt(1)
	ds_write2_b32 v1, v2, v3 offset0:37 offset1:38
.LBB12_652:
	s_or_b64 exec, exec, s[2:3]
	v_cmp_gt_u32_e32 vcc, 64, v0
	s_waitcnt lgkmcnt(0)
	s_barrier
	s_and_saveexec_b64 s[2:3], vcc
	s_cbranch_execz .LBB12_662
; %bb.653:
	v_and_b32_e32 v7, 3, v6
	v_mul_u32_u24_e32 v1, 12, v7
	ds_read_u8 v8, v1 offset:144
	ds_read2_b32 v[2:3], v1 offset0:37 offset1:38
	v_cmp_ne_u32_e32 vcc, 3, v7
	v_addc_co_u32_e32 v1, vcc, 0, v6, vcc
	s_waitcnt lgkmcnt(1)
	v_and_b32_e32 v4, 0xff, v8
	v_lshlrev_b32_e32 v5, 2, v1
	ds_bpermute_b32 v1, v5, v4
	s_waitcnt lgkmcnt(1)
	ds_bpermute_b32 v4, v5, v2
	ds_bpermute_b32 v5, v5, v3
	v_and_b32_e32 v9, 1, v8
	v_cmp_eq_u32_e32 vcc, 1, v9
	s_and_saveexec_b64 s[8:9], vcc
	s_cbranch_execz .LBB12_657
; %bb.654:
	s_waitcnt lgkmcnt(2)
	v_and_b32_e32 v1, 1, v1
	v_cmp_eq_u32_e32 vcc, 1, v1
	s_and_saveexec_b64 s[10:11], vcc
	s_cbranch_execz .LBB12_656
; %bb.655:
	s_waitcnt lgkmcnt(0)
	v_cmp_gt_f32_e32 vcc, v5, v3
	v_cndmask_b32_e32 v3, v3, v5, vcc
	v_cmp_gt_f32_e32 vcc, v2, v4
	v_cndmask_b32_e32 v2, v2, v4, vcc
	v_mov_b32_e32 v8, 1
.LBB12_656:
	s_or_b64 exec, exec, s[10:11]
	v_mov_b32_e32 v1, v8
	s_waitcnt lgkmcnt(0)
	v_pk_mov_b32 v[4:5], v[2:3], v[2:3] op_sel:[0,1]
.LBB12_657:
	s_or_b64 exec, exec, s[8:9]
	v_cmp_gt_u32_e32 vcc, 2, v7
	v_cndmask_b32_e64 v3, 0, 1, vcc
	v_lshlrev_b32_e32 v3, 1, v3
	s_waitcnt lgkmcnt(2)
	v_and_b32_e32 v2, 0xff, v1
	v_add_lshl_u32 v3, v3, v6, 2
	ds_bpermute_b32 v6, v3, v2
	s_waitcnt lgkmcnt(2)
	ds_bpermute_b32 v2, v3, v4
	s_waitcnt lgkmcnt(2)
	ds_bpermute_b32 v3, v3, v5
	v_and_b32_e32 v7, 1, v1
	v_cmp_eq_u32_e32 vcc, 1, v7
	s_and_saveexec_b64 s[8:9], vcc
	s_cbranch_execz .LBB12_661
; %bb.658:
	s_waitcnt lgkmcnt(2)
	v_and_b32_e32 v6, 1, v6
	v_cmp_eq_u32_e32 vcc, 1, v6
	s_and_saveexec_b64 s[10:11], vcc
	s_cbranch_execz .LBB12_660
; %bb.659:
	s_waitcnt lgkmcnt(0)
	v_cmp_gt_f32_e32 vcc, v3, v5
	v_cndmask_b32_e32 v5, v5, v3, vcc
	v_cmp_gt_f32_e32 vcc, v4, v2
	v_cndmask_b32_e32 v4, v4, v2, vcc
	v_mov_b32_e32 v1, 1
.LBB12_660:
	s_or_b64 exec, exec, s[10:11]
	v_mov_b32_e32 v6, v1
	s_waitcnt lgkmcnt(0)
	v_pk_mov_b32 v[2:3], v[4:5], v[4:5] op_sel:[0,1]
.LBB12_661:
	s_or_b64 exec, exec, s[8:9]
	s_waitcnt lgkmcnt(2)
	v_and_b32_e32 v9, 0xff, v6
.LBB12_662:
	s_or_b64 exec, exec, s[2:3]
	s_branch .LBB12_729
.LBB12_663:
                                        ; implicit-def: $vgpr4_vgpr5
                                        ; implicit-def: $vgpr1
	s_cbranch_execnz .LBB12_736
	s_branch .LBB12_776
.LBB12_664:
                                        ; implicit-def: $vgpr4_vgpr5
                                        ; implicit-def: $vgpr1
	s_branch .LBB12_776
.LBB12_665:
                                        ; implicit-def: $vgpr2_vgpr3
                                        ; implicit-def: $vgpr9
	s_cbranch_execz .LBB12_729
; %bb.666:
	s_mov_b32 s2, 0
	s_sub_i32 s10, s38, s12
	s_mov_b32 s3, s2
	v_cmp_gt_u32_e32 vcc, s10, v0
	s_waitcnt lgkmcnt(2)
	v_mov_b32_e32 v1, 0
	s_waitcnt lgkmcnt(0)
	v_pk_mov_b32 v[2:3], s[2:3], s[2:3] op_sel:[0,1]
	v_mov_b32_e32 v6, 0
	s_and_saveexec_b64 s[8:9], vcc
	s_cbranch_execz .LBB12_668
; %bb.667:
	v_mad_u64_u32 v[4:5], s[12:13], v0, 12, s[0:1]
	global_load_ubyte v6, v[4:5], off
	global_load_dwordx2 v[2:3], v[4:5], off offset:4
.LBB12_668:
	s_or_b64 exec, exec, s[8:9]
	v_or_b32_e32 v4, 0x100, v0
	v_cmp_gt_u32_e32 vcc, s10, v4
	v_pk_mov_b32 v[4:5], s[2:3], s[2:3] op_sel:[0,1]
	s_and_saveexec_b64 s[2:3], vcc
	s_cbranch_execz .LBB12_670
; %bb.669:
	v_mad_u64_u32 v[8:9], s[0:1], v0, 12, s[0:1]
	global_load_ubyte v1, v[8:9], off offset:3072
	global_load_dwordx2 v[4:5], v[8:9], off offset:3076
.LBB12_670:
	s_or_b64 exec, exec, s[2:3]
	s_and_saveexec_b64 s[0:1], vcc
	s_cbranch_execz .LBB12_676
; %bb.671:
	s_waitcnt vmcnt(1)
	v_and_b32_e32 v7, 1, v6
	v_cmp_eq_u32_e32 vcc, 1, v7
	s_and_saveexec_b64 s[2:3], vcc
	s_cbranch_execz .LBB12_675
; %bb.672:
	v_and_b32_e32 v1, 1, v1
	v_cmp_eq_u32_e32 vcc, 1, v1
	s_and_saveexec_b64 s[8:9], vcc
	s_cbranch_execz .LBB12_674
; %bb.673:
	s_waitcnt vmcnt(0)
	v_cmp_lt_f32_e32 vcc, v3, v5
	v_cndmask_b32_e32 v3, v3, v5, vcc
	v_cmp_lt_f32_e32 vcc, v4, v2
	v_cndmask_b32_e32 v2, v2, v4, vcc
	v_mov_b32_e32 v6, 1
.LBB12_674:
	s_or_b64 exec, exec, s[8:9]
	s_waitcnt vmcnt(0)
	v_pk_mov_b32 v[4:5], v[2:3], v[2:3] op_sel:[0,1]
	v_mov_b32_e32 v1, v6
.LBB12_675:
	s_or_b64 exec, exec, s[2:3]
	v_mov_b32_e32 v6, v1
	s_waitcnt vmcnt(0)
	v_pk_mov_b32 v[2:3], v[4:5], v[4:5] op_sel:[0,1]
.LBB12_676:
	s_or_b64 exec, exec, s[0:1]
	s_waitcnt vmcnt(1)
	v_mbcnt_lo_u32_b32 v1, -1, 0
	v_mbcnt_hi_u32_b32 v1, -1, v1
	v_and_b32_e32 v8, 63, v1
	s_min_u32 s10, s10, 0x100
	s_waitcnt vmcnt(0)
	v_and_b32_e32 v4, 0xc0, v0
	v_cmp_ne_u32_e32 vcc, 63, v8
	v_sub_u32_e64 v7, s10, v4 clamp
	v_addc_co_u32_e32 v4, vcc, 0, v1, vcc
	v_and_b32_e32 v9, 0xff, v6
	v_lshlrev_b32_e32 v5, 2, v4
	ds_bpermute_b32 v12, v5, v9
	ds_bpermute_b32 v4, v5, v2
	;; [unrolled: 1-line block ×3, first 2 shown]
	v_add_u32_e32 v10, 1, v8
	v_cmp_lt_u32_e32 vcc, v10, v7
	v_mov_b32_e32 v10, v2
	v_mov_b32_e32 v11, v3
	s_and_saveexec_b64 s[0:1], vcc
	s_cbranch_execz .LBB12_682
; %bb.677:
	v_and_b32_e32 v9, 1, v6
	v_cmp_eq_u32_e32 vcc, 1, v9
	s_and_saveexec_b64 s[2:3], vcc
	s_cbranch_execz .LBB12_681
; %bb.678:
	s_waitcnt lgkmcnt(2)
	v_and_b32_e32 v9, 1, v12
	v_cmp_eq_u32_e32 vcc, 1, v9
	s_and_saveexec_b64 s[8:9], vcc
	s_cbranch_execz .LBB12_680
; %bb.679:
	s_waitcnt lgkmcnt(0)
	v_cmp_lt_f32_e32 vcc, v3, v5
	v_cndmask_b32_e32 v3, v3, v5, vcc
	v_cmp_gt_f32_e32 vcc, v2, v4
	v_cndmask_b32_e32 v2, v2, v4, vcc
	v_mov_b32_e32 v6, 1
.LBB12_680:
	s_or_b64 exec, exec, s[8:9]
	v_mov_b32_e32 v12, v6
	s_waitcnt lgkmcnt(0)
	v_pk_mov_b32 v[4:5], v[2:3], v[2:3] op_sel:[0,1]
.LBB12_681:
	s_or_b64 exec, exec, s[2:3]
	s_waitcnt lgkmcnt(2)
	v_and_b32_e32 v9, 0xff, v12
	s_waitcnt lgkmcnt(0)
	v_pk_mov_b32 v[2:3], v[4:5], v[4:5] op_sel:[0,1]
	v_mov_b32_e32 v6, v12
	v_mov_b32_e32 v10, v4
	v_mov_b32_e32 v11, v5
.LBB12_682:
	s_or_b64 exec, exec, s[0:1]
	v_cmp_gt_u32_e32 vcc, 62, v8
	s_waitcnt lgkmcnt(1)
	v_cndmask_b32_e64 v4, 0, 1, vcc
	v_lshlrev_b32_e32 v4, 1, v4
	s_waitcnt lgkmcnt(0)
	v_add_lshl_u32 v5, v4, v1, 2
	ds_bpermute_b32 v12, v5, v9
	ds_bpermute_b32 v4, v5, v10
	;; [unrolled: 1-line block ×3, first 2 shown]
	v_add_u32_e32 v13, 2, v8
	v_cmp_lt_u32_e32 vcc, v13, v7
	s_and_saveexec_b64 s[0:1], vcc
	s_cbranch_execz .LBB12_688
; %bb.683:
	v_and_b32_e32 v9, 1, v6
	v_cmp_eq_u32_e32 vcc, 1, v9
	s_and_saveexec_b64 s[2:3], vcc
	s_cbranch_execz .LBB12_687
; %bb.684:
	s_waitcnt lgkmcnt(2)
	v_and_b32_e32 v9, 1, v12
	v_cmp_eq_u32_e32 vcc, 1, v9
	s_and_saveexec_b64 s[8:9], vcc
	s_cbranch_execz .LBB12_686
; %bb.685:
	s_waitcnt lgkmcnt(0)
	v_cmp_lt_f32_e32 vcc, v3, v5
	v_cndmask_b32_e32 v3, v3, v5, vcc
	v_cmp_lt_f32_e32 vcc, v4, v2
	v_cndmask_b32_e32 v2, v2, v4, vcc
	v_mov_b32_e32 v6, 1
.LBB12_686:
	s_or_b64 exec, exec, s[8:9]
	v_mov_b32_e32 v12, v6
	s_waitcnt lgkmcnt(0)
	v_pk_mov_b32 v[4:5], v[2:3], v[2:3] op_sel:[0,1]
.LBB12_687:
	s_or_b64 exec, exec, s[2:3]
	s_waitcnt lgkmcnt(2)
	v_and_b32_e32 v9, 0xff, v12
	s_waitcnt lgkmcnt(0)
	v_pk_mov_b32 v[2:3], v[4:5], v[4:5] op_sel:[0,1]
	v_mov_b32_e32 v6, v12
	v_mov_b32_e32 v10, v4
	v_mov_b32_e32 v11, v5
.LBB12_688:
	s_or_b64 exec, exec, s[0:1]
	v_cmp_gt_u32_e32 vcc, 60, v8
	s_waitcnt lgkmcnt(1)
	v_cndmask_b32_e64 v4, 0, 1, vcc
	v_lshlrev_b32_e32 v4, 2, v4
	s_waitcnt lgkmcnt(0)
	v_add_lshl_u32 v5, v4, v1, 2
	ds_bpermute_b32 v12, v5, v9
	ds_bpermute_b32 v4, v5, v10
	;; [unrolled: 1-line block ×3, first 2 shown]
	v_add_u32_e32 v13, 4, v8
	v_cmp_lt_u32_e32 vcc, v13, v7
	s_and_saveexec_b64 s[0:1], vcc
	s_cbranch_execz .LBB12_694
; %bb.689:
	v_and_b32_e32 v9, 1, v6
	v_cmp_eq_u32_e32 vcc, 1, v9
	s_and_saveexec_b64 s[2:3], vcc
	s_cbranch_execz .LBB12_693
; %bb.690:
	s_waitcnt lgkmcnt(2)
	v_and_b32_e32 v9, 1, v12
	v_cmp_eq_u32_e32 vcc, 1, v9
	s_and_saveexec_b64 s[8:9], vcc
	s_cbranch_execz .LBB12_692
; %bb.691:
	s_waitcnt lgkmcnt(0)
	v_cmp_lt_f32_e32 vcc, v3, v5
	v_cndmask_b32_e32 v3, v3, v5, vcc
	v_cmp_lt_f32_e32 vcc, v4, v2
	v_cndmask_b32_e32 v2, v2, v4, vcc
	v_mov_b32_e32 v6, 1
.LBB12_692:
	s_or_b64 exec, exec, s[8:9]
	v_mov_b32_e32 v12, v6
	s_waitcnt lgkmcnt(0)
	v_pk_mov_b32 v[4:5], v[2:3], v[2:3] op_sel:[0,1]
.LBB12_693:
	s_or_b64 exec, exec, s[2:3]
	s_waitcnt lgkmcnt(2)
	v_and_b32_e32 v9, 0xff, v12
	s_waitcnt lgkmcnt(0)
	v_pk_mov_b32 v[2:3], v[4:5], v[4:5] op_sel:[0,1]
	v_mov_b32_e32 v6, v12
	v_mov_b32_e32 v10, v4
	;; [unrolled: 1-line block ×3, first 2 shown]
.LBB12_694:
	s_or_b64 exec, exec, s[0:1]
	v_cmp_gt_u32_e32 vcc, 56, v8
	s_waitcnt lgkmcnt(1)
	v_cndmask_b32_e64 v4, 0, 1, vcc
	v_lshlrev_b32_e32 v4, 3, v4
	s_waitcnt lgkmcnt(0)
	v_add_lshl_u32 v5, v4, v1, 2
	ds_bpermute_b32 v12, v5, v9
	ds_bpermute_b32 v4, v5, v10
	;; [unrolled: 1-line block ×3, first 2 shown]
	v_add_u32_e32 v13, 8, v8
	v_cmp_lt_u32_e32 vcc, v13, v7
	s_and_saveexec_b64 s[0:1], vcc
	s_cbranch_execz .LBB12_700
; %bb.695:
	v_and_b32_e32 v9, 1, v6
	v_cmp_eq_u32_e32 vcc, 1, v9
	s_and_saveexec_b64 s[2:3], vcc
	s_cbranch_execz .LBB12_699
; %bb.696:
	s_waitcnt lgkmcnt(2)
	v_and_b32_e32 v9, 1, v12
	v_cmp_eq_u32_e32 vcc, 1, v9
	s_and_saveexec_b64 s[8:9], vcc
	s_cbranch_execz .LBB12_698
; %bb.697:
	s_waitcnt lgkmcnt(0)
	v_cmp_gt_f32_e32 vcc, v5, v3
	v_cndmask_b32_e32 v3, v3, v5, vcc
	v_cmp_gt_f32_e32 vcc, v2, v4
	v_cndmask_b32_e32 v2, v2, v4, vcc
	v_mov_b32_e32 v6, 1
.LBB12_698:
	s_or_b64 exec, exec, s[8:9]
	v_mov_b32_e32 v12, v6
	s_waitcnt lgkmcnt(0)
	v_pk_mov_b32 v[4:5], v[2:3], v[2:3] op_sel:[0,1]
.LBB12_699:
	s_or_b64 exec, exec, s[2:3]
	s_waitcnt lgkmcnt(2)
	v_and_b32_e32 v9, 0xff, v12
	s_waitcnt lgkmcnt(0)
	v_pk_mov_b32 v[2:3], v[4:5], v[4:5] op_sel:[0,1]
	v_mov_b32_e32 v6, v12
	v_mov_b32_e32 v10, v4
	;; [unrolled: 1-line block ×3, first 2 shown]
.LBB12_700:
	s_or_b64 exec, exec, s[0:1]
	v_cmp_gt_u32_e32 vcc, 48, v8
	s_waitcnt lgkmcnt(1)
	v_cndmask_b32_e64 v4, 0, 1, vcc
	v_lshlrev_b32_e32 v4, 4, v4
	s_waitcnt lgkmcnt(0)
	v_add_lshl_u32 v5, v4, v1, 2
	ds_bpermute_b32 v12, v5, v9
	ds_bpermute_b32 v4, v5, v10
	;; [unrolled: 1-line block ×3, first 2 shown]
	v_add_u32_e32 v13, 16, v8
	v_cmp_lt_u32_e32 vcc, v13, v7
	s_and_saveexec_b64 s[0:1], vcc
	s_cbranch_execz .LBB12_706
; %bb.701:
	v_and_b32_e32 v9, 1, v6
	v_cmp_eq_u32_e32 vcc, 1, v9
	s_and_saveexec_b64 s[2:3], vcc
	s_cbranch_execz .LBB12_705
; %bb.702:
	s_waitcnt lgkmcnt(2)
	v_and_b32_e32 v9, 1, v12
	v_cmp_eq_u32_e32 vcc, 1, v9
	s_and_saveexec_b64 s[8:9], vcc
	s_cbranch_execz .LBB12_704
; %bb.703:
	s_waitcnt lgkmcnt(0)
	v_cmp_gt_f32_e32 vcc, v5, v3
	v_cndmask_b32_e32 v3, v3, v5, vcc
	v_cmp_gt_f32_e32 vcc, v2, v4
	v_cndmask_b32_e32 v2, v2, v4, vcc
	v_mov_b32_e32 v6, 1
.LBB12_704:
	s_or_b64 exec, exec, s[8:9]
	v_mov_b32_e32 v12, v6
	s_waitcnt lgkmcnt(0)
	v_pk_mov_b32 v[4:5], v[2:3], v[2:3] op_sel:[0,1]
.LBB12_705:
	s_or_b64 exec, exec, s[2:3]
	s_waitcnt lgkmcnt(2)
	v_and_b32_e32 v9, 0xff, v12
	s_waitcnt lgkmcnt(0)
	v_pk_mov_b32 v[2:3], v[4:5], v[4:5] op_sel:[0,1]
	v_mov_b32_e32 v6, v12
	v_mov_b32_e32 v10, v4
	;; [unrolled: 1-line block ×3, first 2 shown]
.LBB12_706:
	s_or_b64 exec, exec, s[0:1]
	v_cmp_gt_u32_e32 vcc, 32, v8
	s_waitcnt lgkmcnt(1)
	v_cndmask_b32_e64 v4, 0, 1, vcc
	v_lshlrev_b32_e32 v4, 5, v4
	s_waitcnt lgkmcnt(0)
	v_add_lshl_u32 v5, v4, v1, 2
	ds_bpermute_b32 v12, v5, v9
	ds_bpermute_b32 v4, v5, v10
	;; [unrolled: 1-line block ×3, first 2 shown]
	v_add_u32_e32 v8, 32, v8
	v_cmp_lt_u32_e32 vcc, v8, v7
	s_and_saveexec_b64 s[0:1], vcc
	s_cbranch_execz .LBB12_712
; %bb.707:
	v_and_b32_e32 v7, 1, v6
	v_cmp_eq_u32_e32 vcc, 1, v7
	s_and_saveexec_b64 s[2:3], vcc
	s_cbranch_execz .LBB12_711
; %bb.708:
	s_waitcnt lgkmcnt(2)
	v_and_b32_e32 v7, 1, v12
	v_cmp_eq_u32_e32 vcc, 1, v7
	s_and_saveexec_b64 s[8:9], vcc
	s_cbranch_execz .LBB12_710
; %bb.709:
	s_waitcnt lgkmcnt(0)
	v_cmp_gt_f32_e32 vcc, v5, v3
	v_cndmask_b32_e32 v3, v3, v5, vcc
	v_cmp_gt_f32_e32 vcc, v2, v4
	v_cndmask_b32_e32 v2, v2, v4, vcc
	v_mov_b32_e32 v6, 1
.LBB12_710:
	s_or_b64 exec, exec, s[8:9]
	v_mov_b32_e32 v12, v6
	s_waitcnt lgkmcnt(0)
	v_pk_mov_b32 v[4:5], v[2:3], v[2:3] op_sel:[0,1]
.LBB12_711:
	s_or_b64 exec, exec, s[2:3]
	s_waitcnt lgkmcnt(2)
	v_and_b32_e32 v9, 0xff, v12
	s_waitcnt lgkmcnt(0)
	v_pk_mov_b32 v[2:3], v[4:5], v[4:5] op_sel:[0,1]
	v_mov_b32_e32 v6, v12
.LBB12_712:
	s_or_b64 exec, exec, s[0:1]
	v_cmp_eq_u32_e32 vcc, 0, v1
	s_and_saveexec_b64 s[0:1], vcc
	s_cbranch_execz .LBB12_714
; %bb.713:
	s_waitcnt lgkmcnt(1)
	v_lshrrev_b32_e32 v4, 6, v0
	v_mul_u32_u24_e32 v4, 12, v4
	ds_write_b8 v4, v6
	ds_write2_b32 v4, v2, v3 offset0:1 offset1:2
.LBB12_714:
	s_or_b64 exec, exec, s[0:1]
	v_cmp_gt_u32_e32 vcc, 4, v0
	s_waitcnt lgkmcnt(0)
	s_barrier
	s_and_saveexec_b64 s[0:1], vcc
	s_cbranch_execz .LBB12_728
; %bb.715:
	v_mul_u32_u24_e32 v2, 12, v1
	ds_read_u8 v6, v2
	ds_read2_b32 v[2:3], v2 offset0:1 offset1:2
	v_and_b32_e32 v7, 3, v1
	v_cmp_ne_u32_e32 vcc, 3, v7
	v_addc_co_u32_e32 v4, vcc, 0, v1, vcc
	s_waitcnt lgkmcnt(1)
	v_and_b32_e32 v9, 0xff, v6
	v_lshlrev_b32_e32 v5, 2, v4
	ds_bpermute_b32 v8, v5, v9
	s_waitcnt lgkmcnt(1)
	ds_bpermute_b32 v4, v5, v2
	ds_bpermute_b32 v5, v5, v3
	s_add_i32 s10, s10, 63
	s_lshr_b32 s12, s10, 6
	v_add_u32_e32 v10, 1, v7
	v_cmp_gt_u32_e32 vcc, s12, v10
	v_mov_b32_e32 v10, v2
	v_mov_b32_e32 v11, v3
	s_and_saveexec_b64 s[2:3], vcc
	s_cbranch_execz .LBB12_721
; %bb.716:
	v_and_b32_e32 v9, 1, v6
	v_cmp_eq_u32_e32 vcc, 1, v9
	s_and_saveexec_b64 s[8:9], vcc
	s_cbranch_execz .LBB12_720
; %bb.717:
	s_waitcnt lgkmcnt(2)
	v_and_b32_e32 v8, 1, v8
	v_cmp_eq_u32_e32 vcc, 1, v8
	s_and_saveexec_b64 s[10:11], vcc
	s_cbranch_execz .LBB12_719
; %bb.718:
	s_waitcnt lgkmcnt(0)
	v_cmp_gt_f32_e32 vcc, v5, v3
	v_cndmask_b32_e32 v3, v3, v5, vcc
	v_cmp_gt_f32_e32 vcc, v2, v4
	v_cndmask_b32_e32 v2, v2, v4, vcc
	v_mov_b32_e32 v6, 1
.LBB12_719:
	s_or_b64 exec, exec, s[10:11]
	v_mov_b32_e32 v8, v6
	s_waitcnt lgkmcnt(0)
	v_pk_mov_b32 v[4:5], v[2:3], v[2:3] op_sel:[0,1]
.LBB12_720:
	s_or_b64 exec, exec, s[8:9]
	s_waitcnt lgkmcnt(2)
	v_and_b32_e32 v9, 0xff, v8
	s_waitcnt lgkmcnt(0)
	v_pk_mov_b32 v[2:3], v[4:5], v[4:5] op_sel:[0,1]
	v_mov_b32_e32 v6, v8
	v_mov_b32_e32 v10, v4
	;; [unrolled: 1-line block ×3, first 2 shown]
.LBB12_721:
	s_or_b64 exec, exec, s[2:3]
	v_cmp_gt_u32_e32 vcc, 2, v7
	s_waitcnt lgkmcnt(1)
	v_cndmask_b32_e64 v4, 0, 1, vcc
	v_lshlrev_b32_e32 v4, 1, v4
	s_waitcnt lgkmcnt(0)
	v_add_lshl_u32 v5, v4, v1, 2
	ds_bpermute_b32 v1, v5, v9
	ds_bpermute_b32 v4, v5, v10
	;; [unrolled: 1-line block ×3, first 2 shown]
	v_add_u32_e32 v7, 2, v7
	v_cmp_gt_u32_e32 vcc, s12, v7
	s_and_saveexec_b64 s[2:3], vcc
	s_cbranch_execz .LBB12_727
; %bb.722:
	v_and_b32_e32 v7, 1, v6
	v_cmp_eq_u32_e32 vcc, 1, v7
	s_and_saveexec_b64 s[8:9], vcc
	s_cbranch_execz .LBB12_726
; %bb.723:
	s_waitcnt lgkmcnt(2)
	v_and_b32_e32 v1, 1, v1
	v_cmp_eq_u32_e32 vcc, 1, v1
	s_and_saveexec_b64 s[10:11], vcc
	s_cbranch_execz .LBB12_725
; %bb.724:
	s_waitcnt lgkmcnt(0)
	v_cmp_gt_f32_e32 vcc, v5, v3
	v_cndmask_b32_e32 v3, v3, v5, vcc
	v_cmp_gt_f32_e32 vcc, v2, v4
	v_cndmask_b32_e32 v2, v2, v4, vcc
	v_mov_b32_e32 v6, 1
.LBB12_725:
	s_or_b64 exec, exec, s[10:11]
	v_mov_b32_e32 v1, v6
	s_waitcnt lgkmcnt(0)
	v_pk_mov_b32 v[4:5], v[2:3], v[2:3] op_sel:[0,1]
.LBB12_726:
	s_or_b64 exec, exec, s[8:9]
	s_waitcnt lgkmcnt(2)
	v_and_b32_e32 v9, 0xff, v1
	s_waitcnt lgkmcnt(0)
	v_pk_mov_b32 v[2:3], v[4:5], v[4:5] op_sel:[0,1]
.LBB12_727:
	s_or_b64 exec, exec, s[2:3]
.LBB12_728:
	s_or_b64 exec, exec, s[0:1]
.LBB12_729:
	v_cmp_eq_u32_e32 vcc, 0, v0
                                        ; implicit-def: $vgpr4_vgpr5
                                        ; implicit-def: $vgpr1
	s_and_saveexec_b64 s[0:1], vcc
	s_xor_b64 s[8:9], exec, s[0:1]
	s_cbranch_execz .LBB12_735
; %bb.730:
	s_cmp_eq_u64 s[38:39], 0
	s_waitcnt lgkmcnt(0)
	v_pk_mov_b32 v[4:5], s[34:35], s[34:35] op_sel:[0,1]
	v_mov_b32_e32 v1, s33
	s_cbranch_scc1 .LBB12_734
; %bb.731:
	s_bitcmp0_b32 s33, 0
	s_cbranch_scc1 .LBB12_733
; %bb.732:
	v_and_b32_e32 v1, 1, v9
	v_cmp_lt_f32_e32 vcc, s35, v3
	v_cmp_eq_u32_e64 s[2:3], 1, v1
	v_cmp_gt_f32_e64 s[0:1], s34, v2
	v_mov_b32_e32 v1, s35
	s_and_b64 vcc, s[2:3], vcc
	v_mov_b32_e32 v4, s33
	v_cndmask_b32_e32 v3, v1, v3, vcc
	v_mov_b32_e32 v1, s34
	s_and_b64 vcc, s[2:3], s[0:1]
	v_cndmask_b32_e64 v9, v4, 1, s[2:3]
	v_cndmask_b32_e32 v2, v1, v2, vcc
.LBB12_733:
	v_pk_mov_b32 v[4:5], v[2:3], v[2:3] op_sel:[0,1]
	v_mov_b32_e32 v1, v9
.LBB12_734:
	s_or_b64 s[16:17], s[16:17], exec
.LBB12_735:
	s_or_b64 exec, exec, s[8:9]
	s_branch .LBB12_776
.LBB12_736:
	s_cmp_eq_u32 s48, 1
	s_cbranch_scc0 .LBB12_775
; %bb.737:
	s_lshl_b32 s10, s6, 8
	s_mov_b32 s7, 0
	s_lshr_b64 s[0:1], s[38:39], 8
	s_cmp_lg_u64 s[0:1], s[6:7]
	s_cbranch_scc0 .LBB12_779
; %bb.738:
	s_mul_i32 s0, s10, 12
	s_mul_hi_u32 s1, s10, 12
	s_add_u32 s0, s36, s0
	s_addc_u32 s1, s37, s1
	s_waitcnt lgkmcnt(0)
	v_mad_u64_u32 v[4:5], s[0:1], v0, 12, s[0:1]
	global_load_ubyte v1, v[4:5], off
	global_load_dwordx2 v[2:3], v[4:5], off offset:4
	s_waitcnt vmcnt(1)
	v_and_b32_e32 v7, 1, v1
	s_nop 1
	v_mov_b32_dpp v6, v7 quad_perm:[1,0,3,2] row_mask:0xf bank_mask:0xf bound_ctrl:1
	v_and_b32_e32 v8, 1, v6
	s_waitcnt vmcnt(0)
	v_mov_b32_dpp v4, v2 quad_perm:[1,0,3,2] row_mask:0xf bank_mask:0xf bound_ctrl:1
	v_mov_b32_dpp v5, v3 quad_perm:[1,0,3,2] row_mask:0xf bank_mask:0xf bound_ctrl:1
	v_cmp_eq_u32_e32 vcc, 1, v8
	s_and_saveexec_b64 s[0:1], vcc
	s_cbranch_execz .LBB12_742
; %bb.739:
	v_cmp_eq_u32_e32 vcc, 1, v7
	s_and_saveexec_b64 s[2:3], vcc
; %bb.740:
	v_cmp_gt_f32_e32 vcc, v3, v5
	v_cndmask_b32_e32 v5, v5, v3, vcc
	v_cmp_lt_f32_e32 vcc, v2, v4
	v_cndmask_b32_e32 v4, v4, v2, vcc
	v_mov_b32_e32 v6, 1
; %bb.741:
	s_or_b64 exec, exec, s[2:3]
	v_mov_b32_e32 v1, v6
	v_pk_mov_b32 v[2:3], v[4:5], v[4:5] op_sel:[0,1]
.LBB12_742:
	s_or_b64 exec, exec, s[0:1]
	v_and_b32_e32 v4, 0xff, v1
	v_mov_b32_dpp v5, v3 quad_perm:[2,3,0,1] row_mask:0xf bank_mask:0xf bound_ctrl:1
	s_nop 0
	v_mov_b32_dpp v6, v4 quad_perm:[2,3,0,1] row_mask:0xf bank_mask:0xf bound_ctrl:1
	v_and_b32_e32 v7, 1, v6
	v_mov_b32_dpp v4, v2 quad_perm:[2,3,0,1] row_mask:0xf bank_mask:0xf bound_ctrl:1
	v_cmp_eq_u32_e32 vcc, 1, v7
	s_and_saveexec_b64 s[0:1], vcc
	s_cbranch_execz .LBB12_746
; %bb.743:
	v_and_b32_e32 v1, 1, v1
	v_cmp_eq_u32_e32 vcc, 1, v1
	s_and_saveexec_b64 s[2:3], vcc
; %bb.744:
	v_cmp_lt_f32_e32 vcc, v5, v3
	v_cndmask_b32_e32 v5, v5, v3, vcc
	v_cmp_lt_f32_e32 vcc, v2, v4
	v_cndmask_b32_e32 v4, v4, v2, vcc
	v_mov_b32_e32 v6, 1
; %bb.745:
	s_or_b64 exec, exec, s[2:3]
	v_mov_b32_e32 v1, v6
	v_pk_mov_b32 v[2:3], v[4:5], v[4:5] op_sel:[0,1]
.LBB12_746:
	s_or_b64 exec, exec, s[0:1]
	v_and_b32_e32 v4, 0xff, v1
	v_mov_b32_dpp v5, v3 row_ror:4 row_mask:0xf bank_mask:0xf bound_ctrl:1
	s_nop 0
	v_mov_b32_dpp v6, v4 row_ror:4 row_mask:0xf bank_mask:0xf bound_ctrl:1
	v_and_b32_e32 v7, 1, v6
	v_mov_b32_dpp v4, v2 row_ror:4 row_mask:0xf bank_mask:0xf bound_ctrl:1
	v_cmp_eq_u32_e32 vcc, 1, v7
	s_and_saveexec_b64 s[0:1], vcc
	s_cbranch_execz .LBB12_750
; %bb.747:
	v_and_b32_e32 v1, 1, v1
	v_cmp_eq_u32_e32 vcc, 1, v1
	s_and_saveexec_b64 s[2:3], vcc
; %bb.748:
	v_cmp_lt_f32_e32 vcc, v5, v3
	v_cndmask_b32_e32 v5, v5, v3, vcc
	v_cmp_lt_f32_e32 vcc, v2, v4
	v_cndmask_b32_e32 v4, v4, v2, vcc
	v_mov_b32_e32 v6, 1
; %bb.749:
	s_or_b64 exec, exec, s[2:3]
	v_mov_b32_e32 v1, v6
	v_pk_mov_b32 v[2:3], v[4:5], v[4:5] op_sel:[0,1]
.LBB12_750:
	s_or_b64 exec, exec, s[0:1]
	v_and_b32_e32 v4, 0xff, v1
	v_mov_b32_dpp v5, v3 row_ror:8 row_mask:0xf bank_mask:0xf bound_ctrl:1
	s_nop 0
	v_mov_b32_dpp v6, v4 row_ror:8 row_mask:0xf bank_mask:0xf bound_ctrl:1
	v_and_b32_e32 v7, 1, v6
	v_mov_b32_dpp v4, v2 row_ror:8 row_mask:0xf bank_mask:0xf bound_ctrl:1
	v_cmp_eq_u32_e32 vcc, 1, v7
	s_and_saveexec_b64 s[0:1], vcc
	s_cbranch_execz .LBB12_754
; %bb.751:
	v_and_b32_e32 v1, 1, v1
	v_cmp_eq_u32_e32 vcc, 1, v1
	s_and_saveexec_b64 s[2:3], vcc
; %bb.752:
	v_cmp_lt_f32_e32 vcc, v5, v3
	v_cndmask_b32_e32 v5, v5, v3, vcc
	v_cmp_lt_f32_e32 vcc, v2, v4
	v_cndmask_b32_e32 v4, v4, v2, vcc
	v_mov_b32_e32 v6, 1
; %bb.753:
	s_or_b64 exec, exec, s[2:3]
	v_mov_b32_e32 v1, v6
	v_pk_mov_b32 v[2:3], v[4:5], v[4:5] op_sel:[0,1]
.LBB12_754:
	s_or_b64 exec, exec, s[0:1]
	v_and_b32_e32 v4, 0xff, v1
	v_mov_b32_dpp v5, v3 row_bcast:15 row_mask:0xf bank_mask:0xf bound_ctrl:1
	s_nop 0
	v_mov_b32_dpp v6, v4 row_bcast:15 row_mask:0xf bank_mask:0xf bound_ctrl:1
	v_and_b32_e32 v7, 1, v6
	v_mov_b32_dpp v4, v2 row_bcast:15 row_mask:0xf bank_mask:0xf bound_ctrl:1
	v_cmp_eq_u32_e32 vcc, 1, v7
	s_and_saveexec_b64 s[0:1], vcc
	s_cbranch_execz .LBB12_758
; %bb.755:
	v_and_b32_e32 v1, 1, v1
	v_cmp_eq_u32_e32 vcc, 1, v1
	s_and_saveexec_b64 s[2:3], vcc
; %bb.756:
	v_cmp_lt_f32_e32 vcc, v5, v3
	v_cndmask_b32_e32 v5, v5, v3, vcc
	v_cmp_lt_f32_e32 vcc, v2, v4
	v_cndmask_b32_e32 v4, v4, v2, vcc
	v_mov_b32_e32 v6, 1
; %bb.757:
	s_or_b64 exec, exec, s[2:3]
	v_mov_b32_e32 v1, v6
	v_pk_mov_b32 v[2:3], v[4:5], v[4:5] op_sel:[0,1]
.LBB12_758:
	s_or_b64 exec, exec, s[0:1]
	v_and_b32_e32 v4, 0xff, v1
	v_mov_b32_dpp v5, v3 row_bcast:31 row_mask:0xf bank_mask:0xf bound_ctrl:1
	s_nop 0
	v_mov_b32_dpp v6, v4 row_bcast:31 row_mask:0xf bank_mask:0xf bound_ctrl:1
	v_and_b32_e32 v7, 1, v6
	v_mov_b32_dpp v4, v2 row_bcast:31 row_mask:0xf bank_mask:0xf bound_ctrl:1
	v_cmp_eq_u32_e32 vcc, 1, v7
	s_and_saveexec_b64 s[0:1], vcc
	s_cbranch_execz .LBB12_762
; %bb.759:
	v_and_b32_e32 v1, 1, v1
	v_cmp_eq_u32_e32 vcc, 1, v1
	s_and_saveexec_b64 s[2:3], vcc
; %bb.760:
	v_cmp_lt_f32_e32 vcc, v5, v3
	v_cndmask_b32_e32 v5, v5, v3, vcc
	v_cmp_lt_f32_e32 vcc, v2, v4
	v_cndmask_b32_e32 v4, v4, v2, vcc
	v_mov_b32_e32 v6, 1
; %bb.761:
	s_or_b64 exec, exec, s[2:3]
	v_mov_b32_e32 v1, v6
	v_pk_mov_b32 v[2:3], v[4:5], v[4:5] op_sel:[0,1]
.LBB12_762:
	s_or_b64 exec, exec, s[0:1]
	v_mbcnt_lo_u32_b32 v4, -1, 0
	v_mbcnt_hi_u32_b32 v7, -1, v4
	v_bfrev_b32_e32 v4, 0.5
	v_and_b32_e32 v1, 0xff, v1
	v_lshl_or_b32 v4, v7, 2, v4
	ds_bpermute_b32 v6, v4, v1
	ds_bpermute_b32 v2, v4, v2
	;; [unrolled: 1-line block ×3, first 2 shown]
	v_cmp_eq_u32_e32 vcc, 0, v7
	s_and_saveexec_b64 s[0:1], vcc
	s_cbranch_execz .LBB12_764
; %bb.763:
	v_lshrrev_b32_e32 v1, 6, v0
	v_mul_u32_u24_e32 v1, 12, v1
	s_waitcnt lgkmcnt(2)
	ds_write_b8 v1, v6 offset:96
	s_waitcnt lgkmcnt(1)
	ds_write2_b32 v1, v2, v3 offset0:25 offset1:26
.LBB12_764:
	s_or_b64 exec, exec, s[0:1]
	v_cmp_gt_u32_e32 vcc, 64, v0
	s_waitcnt lgkmcnt(0)
	s_barrier
	s_and_saveexec_b64 s[0:1], vcc
	s_cbranch_execz .LBB12_774
; %bb.765:
	v_and_b32_e32 v6, 3, v7
	v_mul_u32_u24_e32 v1, 12, v6
	ds_read_u8 v8, v1 offset:96
	ds_read2_b32 v[2:3], v1 offset0:25 offset1:26
	v_cmp_ne_u32_e32 vcc, 3, v6
	v_addc_co_u32_e32 v1, vcc, 0, v7, vcc
	s_waitcnt lgkmcnt(1)
	v_and_b32_e32 v4, 0xff, v8
	v_lshlrev_b32_e32 v5, 2, v1
	ds_bpermute_b32 v1, v5, v4
	s_waitcnt lgkmcnt(1)
	ds_bpermute_b32 v4, v5, v2
	ds_bpermute_b32 v5, v5, v3
	v_and_b32_e32 v9, 1, v8
	v_cmp_eq_u32_e32 vcc, 1, v9
	s_and_saveexec_b64 s[2:3], vcc
	s_cbranch_execz .LBB12_769
; %bb.766:
	s_waitcnt lgkmcnt(2)
	v_and_b32_e32 v1, 1, v1
	v_cmp_eq_u32_e32 vcc, 1, v1
	s_and_saveexec_b64 s[8:9], vcc
	s_cbranch_execz .LBB12_768
; %bb.767:
	s_waitcnt lgkmcnt(0)
	v_cmp_gt_f32_e32 vcc, v5, v3
	v_cndmask_b32_e32 v3, v3, v5, vcc
	v_cmp_gt_f32_e32 vcc, v2, v4
	v_cndmask_b32_e32 v2, v2, v4, vcc
	v_mov_b32_e32 v8, 1
.LBB12_768:
	s_or_b64 exec, exec, s[8:9]
	v_mov_b32_e32 v1, v8
	s_waitcnt lgkmcnt(0)
	v_pk_mov_b32 v[4:5], v[2:3], v[2:3] op_sel:[0,1]
.LBB12_769:
	s_or_b64 exec, exec, s[2:3]
	v_cmp_gt_u32_e32 vcc, 2, v6
	v_cndmask_b32_e64 v3, 0, 1, vcc
	v_lshlrev_b32_e32 v3, 1, v3
	s_waitcnt lgkmcnt(2)
	v_and_b32_e32 v2, 0xff, v1
	v_add_lshl_u32 v3, v3, v7, 2
	ds_bpermute_b32 v6, v3, v2
	s_waitcnt lgkmcnt(2)
	ds_bpermute_b32 v2, v3, v4
	s_waitcnt lgkmcnt(2)
	ds_bpermute_b32 v3, v3, v5
	v_and_b32_e32 v7, 1, v1
	v_cmp_eq_u32_e32 vcc, 1, v7
	s_and_saveexec_b64 s[2:3], vcc
	s_cbranch_execz .LBB12_773
; %bb.770:
	s_waitcnt lgkmcnt(2)
	v_and_b32_e32 v6, 1, v6
	v_cmp_eq_u32_e32 vcc, 1, v6
	s_and_saveexec_b64 s[8:9], vcc
	s_cbranch_execz .LBB12_772
; %bb.771:
	s_waitcnt lgkmcnt(0)
	v_cmp_gt_f32_e32 vcc, v3, v5
	v_cndmask_b32_e32 v5, v5, v3, vcc
	v_cmp_gt_f32_e32 vcc, v4, v2
	v_cndmask_b32_e32 v4, v4, v2, vcc
	v_mov_b32_e32 v1, 1
.LBB12_772:
	s_or_b64 exec, exec, s[8:9]
	v_mov_b32_e32 v6, v1
	s_waitcnt lgkmcnt(0)
	v_pk_mov_b32 v[2:3], v[4:5], v[4:5] op_sel:[0,1]
.LBB12_773:
	s_or_b64 exec, exec, s[2:3]
	s_waitcnt lgkmcnt(2)
	v_and_b32_e32 v6, 0xff, v6
.LBB12_774:
	s_or_b64 exec, exec, s[0:1]
	s_branch .LBB12_835
.LBB12_775:
                                        ; implicit-def: $vgpr4_vgpr5
                                        ; implicit-def: $vgpr1
                                        ; implicit-def: $sgpr6_sgpr7
.LBB12_776:
	s_and_saveexec_b64 s[0:1], s[16:17]
	s_cbranch_execz .LBB12_778
.LBB12_777:
	s_load_dwordx2 s[0:1], s[4:5], 0x18
	s_mul_i32 s2, s7, 12
	s_mul_hi_u32 s3, s6, 12
	s_mul_i32 s4, s6, 12
	s_add_i32 s3, s3, s2
	s_waitcnt lgkmcnt(0)
	s_add_u32 s0, s0, s4
	s_addc_u32 s1, s1, s3
	v_mov_b32_e32 v0, 0
	global_store_byte v0, v1, s[0:1]
	global_store_dwordx2 v0, v[4:5], s[0:1] offset:4
.LBB12_778:
	s_endpgm
.LBB12_779:
                                        ; implicit-def: $vgpr2_vgpr3
                                        ; implicit-def: $vgpr6
	s_cbranch_execz .LBB12_835
; %bb.780:
	s_mov_b32 s0, 0
	s_sub_i32 s2, s38, s10
	s_mov_b32 s1, s0
	v_cmp_gt_u32_e32 vcc, s2, v0
	v_mov_b32_e32 v9, 0
	s_waitcnt lgkmcnt(0)
	v_pk_mov_b32 v[2:3], s[0:1], s[0:1] op_sel:[0,1]
	s_and_saveexec_b64 s[0:1], vcc
	s_cbranch_execz .LBB12_782
; %bb.781:
	s_mul_hi_u32 s3, s10, 12
	s_mul_i32 s10, s10, 12
	s_add_u32 s8, s36, s10
	s_addc_u32 s9, s37, s3
	v_mad_u64_u32 v[4:5], s[8:9], v0, 12, s[8:9]
	global_load_ubyte v9, v[4:5], off
	global_load_dwordx2 v[2:3], v[4:5], off offset:4
.LBB12_782:
	s_or_b64 exec, exec, s[0:1]
	v_mbcnt_lo_u32_b32 v1, -1, 0
	v_mbcnt_hi_u32_b32 v1, -1, v1
	v_and_b32_e32 v8, 63, v1
	s_min_u32 s10, s2, 0x100
	v_and_b32_e32 v4, 0xc0, v0
	v_cmp_ne_u32_e32 vcc, 63, v8
	v_sub_u32_e64 v7, s10, v4 clamp
	v_addc_co_u32_e32 v4, vcc, 0, v1, vcc
	s_waitcnt vmcnt(1)
	v_and_b32_e32 v6, 0xff, v9
	v_lshlrev_b32_e32 v5, 2, v4
	ds_bpermute_b32 v12, v5, v6
	s_waitcnt vmcnt(0)
	ds_bpermute_b32 v4, v5, v2
	ds_bpermute_b32 v5, v5, v3
	v_add_u32_e32 v10, 1, v8
	v_cmp_lt_u32_e32 vcc, v10, v7
	v_mov_b32_e32 v10, v2
	v_mov_b32_e32 v11, v3
	s_and_saveexec_b64 s[0:1], vcc
	s_cbranch_execz .LBB12_788
; %bb.783:
	v_and_b32_e32 v6, 1, v9
	v_cmp_eq_u32_e32 vcc, 1, v6
	s_and_saveexec_b64 s[2:3], vcc
	s_cbranch_execz .LBB12_787
; %bb.784:
	s_waitcnt lgkmcnt(2)
	v_and_b32_e32 v6, 1, v12
	v_cmp_eq_u32_e32 vcc, 1, v6
	s_and_saveexec_b64 s[8:9], vcc
	s_cbranch_execz .LBB12_786
; %bb.785:
	s_waitcnt lgkmcnt(0)
	v_cmp_lt_f32_e32 vcc, v3, v5
	v_cndmask_b32_e32 v3, v3, v5, vcc
	v_cmp_gt_f32_e32 vcc, v2, v4
	v_cndmask_b32_e32 v2, v2, v4, vcc
	v_mov_b32_e32 v9, 1
.LBB12_786:
	s_or_b64 exec, exec, s[8:9]
	v_mov_b32_e32 v12, v9
	s_waitcnt lgkmcnt(0)
	v_pk_mov_b32 v[4:5], v[2:3], v[2:3] op_sel:[0,1]
.LBB12_787:
	s_or_b64 exec, exec, s[2:3]
	s_waitcnt lgkmcnt(2)
	v_and_b32_e32 v6, 0xff, v12
	s_waitcnt lgkmcnt(0)
	v_pk_mov_b32 v[2:3], v[4:5], v[4:5] op_sel:[0,1]
	v_mov_b32_e32 v9, v12
	v_mov_b32_e32 v10, v4
	;; [unrolled: 1-line block ×3, first 2 shown]
.LBB12_788:
	s_or_b64 exec, exec, s[0:1]
	v_cmp_gt_u32_e32 vcc, 62, v8
	s_waitcnt lgkmcnt(1)
	v_cndmask_b32_e64 v4, 0, 1, vcc
	v_lshlrev_b32_e32 v4, 1, v4
	s_waitcnt lgkmcnt(0)
	v_add_lshl_u32 v5, v4, v1, 2
	ds_bpermute_b32 v12, v5, v6
	ds_bpermute_b32 v4, v5, v10
	;; [unrolled: 1-line block ×3, first 2 shown]
	v_add_u32_e32 v13, 2, v8
	v_cmp_lt_u32_e32 vcc, v13, v7
	s_and_saveexec_b64 s[0:1], vcc
	s_cbranch_execz .LBB12_794
; %bb.789:
	v_and_b32_e32 v6, 1, v9
	v_cmp_eq_u32_e32 vcc, 1, v6
	s_and_saveexec_b64 s[2:3], vcc
	s_cbranch_execz .LBB12_793
; %bb.790:
	s_waitcnt lgkmcnt(2)
	v_and_b32_e32 v6, 1, v12
	v_cmp_eq_u32_e32 vcc, 1, v6
	s_and_saveexec_b64 s[8:9], vcc
	s_cbranch_execz .LBB12_792
; %bb.791:
	s_waitcnt lgkmcnt(0)
	v_cmp_lt_f32_e32 vcc, v3, v5
	v_cndmask_b32_e32 v3, v3, v5, vcc
	v_cmp_lt_f32_e32 vcc, v4, v2
	v_cndmask_b32_e32 v2, v2, v4, vcc
	v_mov_b32_e32 v9, 1
.LBB12_792:
	s_or_b64 exec, exec, s[8:9]
	v_mov_b32_e32 v12, v9
	s_waitcnt lgkmcnt(0)
	v_pk_mov_b32 v[4:5], v[2:3], v[2:3] op_sel:[0,1]
.LBB12_793:
	s_or_b64 exec, exec, s[2:3]
	s_waitcnt lgkmcnt(2)
	v_and_b32_e32 v6, 0xff, v12
	s_waitcnt lgkmcnt(0)
	v_pk_mov_b32 v[2:3], v[4:5], v[4:5] op_sel:[0,1]
	v_mov_b32_e32 v9, v12
	v_mov_b32_e32 v10, v4
	;; [unrolled: 1-line block ×3, first 2 shown]
.LBB12_794:
	s_or_b64 exec, exec, s[0:1]
	v_cmp_gt_u32_e32 vcc, 60, v8
	s_waitcnt lgkmcnt(1)
	v_cndmask_b32_e64 v4, 0, 1, vcc
	v_lshlrev_b32_e32 v4, 2, v4
	s_waitcnt lgkmcnt(0)
	v_add_lshl_u32 v5, v4, v1, 2
	ds_bpermute_b32 v12, v5, v6
	ds_bpermute_b32 v4, v5, v10
	;; [unrolled: 1-line block ×3, first 2 shown]
	v_add_u32_e32 v13, 4, v8
	v_cmp_lt_u32_e32 vcc, v13, v7
	s_and_saveexec_b64 s[0:1], vcc
	s_cbranch_execz .LBB12_800
; %bb.795:
	v_and_b32_e32 v6, 1, v9
	v_cmp_eq_u32_e32 vcc, 1, v6
	s_and_saveexec_b64 s[2:3], vcc
	s_cbranch_execz .LBB12_799
; %bb.796:
	s_waitcnt lgkmcnt(2)
	v_and_b32_e32 v6, 1, v12
	v_cmp_eq_u32_e32 vcc, 1, v6
	s_and_saveexec_b64 s[8:9], vcc
	s_cbranch_execz .LBB12_798
; %bb.797:
	s_waitcnt lgkmcnt(0)
	v_cmp_lt_f32_e32 vcc, v3, v5
	v_cndmask_b32_e32 v3, v3, v5, vcc
	v_cmp_lt_f32_e32 vcc, v4, v2
	v_cndmask_b32_e32 v2, v2, v4, vcc
	v_mov_b32_e32 v9, 1
.LBB12_798:
	s_or_b64 exec, exec, s[8:9]
	v_mov_b32_e32 v12, v9
	s_waitcnt lgkmcnt(0)
	v_pk_mov_b32 v[4:5], v[2:3], v[2:3] op_sel:[0,1]
.LBB12_799:
	s_or_b64 exec, exec, s[2:3]
	s_waitcnt lgkmcnt(2)
	v_and_b32_e32 v6, 0xff, v12
	s_waitcnt lgkmcnt(0)
	v_pk_mov_b32 v[2:3], v[4:5], v[4:5] op_sel:[0,1]
	v_mov_b32_e32 v9, v12
	v_mov_b32_e32 v10, v4
	;; [unrolled: 1-line block ×3, first 2 shown]
.LBB12_800:
	s_or_b64 exec, exec, s[0:1]
	v_cmp_gt_u32_e32 vcc, 56, v8
	s_waitcnt lgkmcnt(1)
	v_cndmask_b32_e64 v4, 0, 1, vcc
	v_lshlrev_b32_e32 v4, 3, v4
	s_waitcnt lgkmcnt(0)
	v_add_lshl_u32 v5, v4, v1, 2
	ds_bpermute_b32 v12, v5, v6
	ds_bpermute_b32 v4, v5, v10
	;; [unrolled: 1-line block ×3, first 2 shown]
	v_add_u32_e32 v13, 8, v8
	v_cmp_lt_u32_e32 vcc, v13, v7
	s_and_saveexec_b64 s[0:1], vcc
	s_cbranch_execz .LBB12_806
; %bb.801:
	v_and_b32_e32 v6, 1, v9
	v_cmp_eq_u32_e32 vcc, 1, v6
	s_and_saveexec_b64 s[2:3], vcc
	s_cbranch_execz .LBB12_805
; %bb.802:
	s_waitcnt lgkmcnt(2)
	v_and_b32_e32 v6, 1, v12
	v_cmp_eq_u32_e32 vcc, 1, v6
	s_and_saveexec_b64 s[8:9], vcc
	s_cbranch_execz .LBB12_804
; %bb.803:
	s_waitcnt lgkmcnt(0)
	v_cmp_gt_f32_e32 vcc, v5, v3
	v_cndmask_b32_e32 v3, v3, v5, vcc
	v_cmp_gt_f32_e32 vcc, v2, v4
	v_cndmask_b32_e32 v2, v2, v4, vcc
	v_mov_b32_e32 v9, 1
.LBB12_804:
	s_or_b64 exec, exec, s[8:9]
	v_mov_b32_e32 v12, v9
	s_waitcnt lgkmcnt(0)
	v_pk_mov_b32 v[4:5], v[2:3], v[2:3] op_sel:[0,1]
.LBB12_805:
	s_or_b64 exec, exec, s[2:3]
	s_waitcnt lgkmcnt(2)
	v_and_b32_e32 v6, 0xff, v12
	s_waitcnt lgkmcnt(0)
	v_pk_mov_b32 v[2:3], v[4:5], v[4:5] op_sel:[0,1]
	v_mov_b32_e32 v9, v12
	v_mov_b32_e32 v10, v4
	;; [unrolled: 1-line block ×3, first 2 shown]
.LBB12_806:
	s_or_b64 exec, exec, s[0:1]
	v_cmp_gt_u32_e32 vcc, 48, v8
	s_waitcnt lgkmcnt(1)
	v_cndmask_b32_e64 v4, 0, 1, vcc
	v_lshlrev_b32_e32 v4, 4, v4
	s_waitcnt lgkmcnt(0)
	v_add_lshl_u32 v5, v4, v1, 2
	ds_bpermute_b32 v12, v5, v6
	ds_bpermute_b32 v4, v5, v10
	;; [unrolled: 1-line block ×3, first 2 shown]
	v_add_u32_e32 v13, 16, v8
	v_cmp_lt_u32_e32 vcc, v13, v7
	s_and_saveexec_b64 s[0:1], vcc
	s_cbranch_execz .LBB12_812
; %bb.807:
	v_and_b32_e32 v6, 1, v9
	v_cmp_eq_u32_e32 vcc, 1, v6
	s_and_saveexec_b64 s[2:3], vcc
	s_cbranch_execz .LBB12_811
; %bb.808:
	s_waitcnt lgkmcnt(2)
	v_and_b32_e32 v6, 1, v12
	v_cmp_eq_u32_e32 vcc, 1, v6
	s_and_saveexec_b64 s[8:9], vcc
	s_cbranch_execz .LBB12_810
; %bb.809:
	s_waitcnt lgkmcnt(0)
	v_cmp_gt_f32_e32 vcc, v5, v3
	v_cndmask_b32_e32 v3, v3, v5, vcc
	v_cmp_gt_f32_e32 vcc, v2, v4
	v_cndmask_b32_e32 v2, v2, v4, vcc
	v_mov_b32_e32 v9, 1
.LBB12_810:
	s_or_b64 exec, exec, s[8:9]
	v_mov_b32_e32 v12, v9
	s_waitcnt lgkmcnt(0)
	v_pk_mov_b32 v[4:5], v[2:3], v[2:3] op_sel:[0,1]
.LBB12_811:
	s_or_b64 exec, exec, s[2:3]
	s_waitcnt lgkmcnt(2)
	v_and_b32_e32 v6, 0xff, v12
	s_waitcnt lgkmcnt(0)
	v_pk_mov_b32 v[2:3], v[4:5], v[4:5] op_sel:[0,1]
	v_mov_b32_e32 v9, v12
	v_mov_b32_e32 v10, v4
	;; [unrolled: 1-line block ×3, first 2 shown]
.LBB12_812:
	s_or_b64 exec, exec, s[0:1]
	v_cmp_gt_u32_e32 vcc, 32, v8
	s_waitcnt lgkmcnt(1)
	v_cndmask_b32_e64 v4, 0, 1, vcc
	v_lshlrev_b32_e32 v4, 5, v4
	s_waitcnt lgkmcnt(0)
	v_add_lshl_u32 v5, v4, v1, 2
	ds_bpermute_b32 v12, v5, v6
	ds_bpermute_b32 v4, v5, v10
	;; [unrolled: 1-line block ×3, first 2 shown]
	v_add_u32_e32 v8, 32, v8
	v_cmp_lt_u32_e32 vcc, v8, v7
	s_and_saveexec_b64 s[0:1], vcc
	s_cbranch_execz .LBB12_818
; %bb.813:
	v_and_b32_e32 v6, 1, v9
	v_cmp_eq_u32_e32 vcc, 1, v6
	s_and_saveexec_b64 s[2:3], vcc
	s_cbranch_execz .LBB12_817
; %bb.814:
	s_waitcnt lgkmcnt(2)
	v_and_b32_e32 v6, 1, v12
	v_cmp_eq_u32_e32 vcc, 1, v6
	s_and_saveexec_b64 s[8:9], vcc
	s_cbranch_execz .LBB12_816
; %bb.815:
	s_waitcnt lgkmcnt(0)
	v_cmp_gt_f32_e32 vcc, v5, v3
	v_cndmask_b32_e32 v3, v3, v5, vcc
	v_cmp_gt_f32_e32 vcc, v2, v4
	v_cndmask_b32_e32 v2, v2, v4, vcc
	v_mov_b32_e32 v9, 1
.LBB12_816:
	s_or_b64 exec, exec, s[8:9]
	v_mov_b32_e32 v12, v9
	s_waitcnt lgkmcnt(0)
	v_pk_mov_b32 v[4:5], v[2:3], v[2:3] op_sel:[0,1]
.LBB12_817:
	s_or_b64 exec, exec, s[2:3]
	s_waitcnt lgkmcnt(2)
	v_and_b32_e32 v6, 0xff, v12
	s_waitcnt lgkmcnt(0)
	v_pk_mov_b32 v[2:3], v[4:5], v[4:5] op_sel:[0,1]
	v_mov_b32_e32 v9, v12
.LBB12_818:
	s_or_b64 exec, exec, s[0:1]
	v_cmp_eq_u32_e32 vcc, 0, v1
	s_and_saveexec_b64 s[0:1], vcc
	s_cbranch_execz .LBB12_820
; %bb.819:
	s_waitcnt lgkmcnt(1)
	v_lshrrev_b32_e32 v4, 6, v0
	v_mul_u32_u24_e32 v4, 12, v4
	ds_write_b8 v4, v9
	ds_write2_b32 v4, v2, v3 offset0:1 offset1:2
.LBB12_820:
	s_or_b64 exec, exec, s[0:1]
	v_cmp_gt_u32_e32 vcc, 4, v0
	s_waitcnt lgkmcnt(0)
	s_barrier
	s_and_saveexec_b64 s[0:1], vcc
	s_cbranch_execz .LBB12_834
; %bb.821:
	v_mul_u32_u24_e32 v2, 12, v1
	ds_read_u8 v7, v2
	ds_read2_b32 v[2:3], v2 offset0:1 offset1:2
	v_and_b32_e32 v8, 3, v1
	v_cmp_ne_u32_e32 vcc, 3, v8
	v_addc_co_u32_e32 v4, vcc, 0, v1, vcc
	s_waitcnt lgkmcnt(1)
	v_and_b32_e32 v6, 0xff, v7
	v_lshlrev_b32_e32 v5, 2, v4
	ds_bpermute_b32 v9, v5, v6
	s_waitcnt lgkmcnt(1)
	ds_bpermute_b32 v4, v5, v2
	ds_bpermute_b32 v5, v5, v3
	s_add_i32 s10, s10, 63
	s_lshr_b32 s12, s10, 6
	v_add_u32_e32 v10, 1, v8
	v_cmp_gt_u32_e32 vcc, s12, v10
	v_mov_b32_e32 v10, v2
	v_mov_b32_e32 v11, v3
	s_and_saveexec_b64 s[2:3], vcc
	s_cbranch_execz .LBB12_827
; %bb.822:
	v_and_b32_e32 v6, 1, v7
	v_cmp_eq_u32_e32 vcc, 1, v6
	s_and_saveexec_b64 s[8:9], vcc
	s_cbranch_execz .LBB12_826
; %bb.823:
	s_waitcnt lgkmcnt(2)
	v_and_b32_e32 v6, 1, v9
	v_cmp_eq_u32_e32 vcc, 1, v6
	s_and_saveexec_b64 s[10:11], vcc
	s_cbranch_execz .LBB12_825
; %bb.824:
	s_waitcnt lgkmcnt(0)
	v_cmp_gt_f32_e32 vcc, v5, v3
	v_cndmask_b32_e32 v3, v3, v5, vcc
	v_cmp_gt_f32_e32 vcc, v2, v4
	v_cndmask_b32_e32 v2, v2, v4, vcc
	v_mov_b32_e32 v7, 1
.LBB12_825:
	s_or_b64 exec, exec, s[10:11]
	v_mov_b32_e32 v9, v7
	s_waitcnt lgkmcnt(0)
	v_pk_mov_b32 v[4:5], v[2:3], v[2:3] op_sel:[0,1]
.LBB12_826:
	s_or_b64 exec, exec, s[8:9]
	s_waitcnt lgkmcnt(2)
	v_and_b32_e32 v6, 0xff, v9
	s_waitcnt lgkmcnt(0)
	v_pk_mov_b32 v[2:3], v[4:5], v[4:5] op_sel:[0,1]
	v_mov_b32_e32 v7, v9
	v_mov_b32_e32 v10, v4
	;; [unrolled: 1-line block ×3, first 2 shown]
.LBB12_827:
	s_or_b64 exec, exec, s[2:3]
	v_cmp_gt_u32_e32 vcc, 2, v8
	s_waitcnt lgkmcnt(1)
	v_cndmask_b32_e64 v4, 0, 1, vcc
	v_lshlrev_b32_e32 v4, 1, v4
	s_waitcnt lgkmcnt(0)
	v_add_lshl_u32 v5, v4, v1, 2
	ds_bpermute_b32 v1, v5, v6
	ds_bpermute_b32 v4, v5, v10
	;; [unrolled: 1-line block ×3, first 2 shown]
	v_add_u32_e32 v8, 2, v8
	v_cmp_gt_u32_e32 vcc, s12, v8
	s_and_saveexec_b64 s[2:3], vcc
	s_cbranch_execz .LBB12_833
; %bb.828:
	v_and_b32_e32 v6, 1, v7
	v_cmp_eq_u32_e32 vcc, 1, v6
	s_and_saveexec_b64 s[8:9], vcc
	s_cbranch_execz .LBB12_832
; %bb.829:
	s_waitcnt lgkmcnt(2)
	v_and_b32_e32 v1, 1, v1
	v_cmp_eq_u32_e32 vcc, 1, v1
	s_and_saveexec_b64 s[10:11], vcc
	s_cbranch_execz .LBB12_831
; %bb.830:
	s_waitcnt lgkmcnt(0)
	v_cmp_gt_f32_e32 vcc, v5, v3
	v_cndmask_b32_e32 v3, v3, v5, vcc
	v_cmp_gt_f32_e32 vcc, v2, v4
	v_cndmask_b32_e32 v2, v2, v4, vcc
	v_mov_b32_e32 v7, 1
.LBB12_831:
	s_or_b64 exec, exec, s[10:11]
	v_mov_b32_e32 v1, v7
	s_waitcnt lgkmcnt(0)
	v_pk_mov_b32 v[4:5], v[2:3], v[2:3] op_sel:[0,1]
.LBB12_832:
	s_or_b64 exec, exec, s[8:9]
	s_waitcnt lgkmcnt(2)
	v_and_b32_e32 v6, 0xff, v1
	s_waitcnt lgkmcnt(0)
	v_pk_mov_b32 v[2:3], v[4:5], v[4:5] op_sel:[0,1]
.LBB12_833:
	s_or_b64 exec, exec, s[2:3]
.LBB12_834:
	s_or_b64 exec, exec, s[0:1]
.LBB12_835:
	v_cmp_eq_u32_e32 vcc, 0, v0
                                        ; implicit-def: $vgpr4_vgpr5
                                        ; implicit-def: $vgpr1
	s_and_saveexec_b64 s[8:9], vcc
	s_cbranch_execz .LBB12_841
; %bb.836:
	s_cmp_eq_u64 s[38:39], 0
	s_waitcnt lgkmcnt(0)
	v_pk_mov_b32 v[4:5], s[34:35], s[34:35] op_sel:[0,1]
	v_mov_b32_e32 v1, s33
	s_cbranch_scc1 .LBB12_840
; %bb.837:
	s_bitcmp0_b32 s33, 0
	s_cbranch_scc1 .LBB12_839
; %bb.838:
	v_and_b32_e32 v0, 1, v6
	v_cmp_lt_f32_e32 vcc, s35, v3
	v_cmp_eq_u32_e64 s[2:3], 1, v0
	v_cmp_gt_f32_e64 s[0:1], s34, v2
	v_mov_b32_e32 v0, s35
	s_and_b64 vcc, s[2:3], vcc
	v_mov_b32_e32 v1, s33
	v_cndmask_b32_e32 v3, v0, v3, vcc
	v_mov_b32_e32 v0, s34
	s_and_b64 vcc, s[2:3], s[0:1]
	v_cndmask_b32_e64 v6, v1, 1, s[2:3]
	v_cndmask_b32_e32 v2, v0, v2, vcc
.LBB12_839:
	v_pk_mov_b32 v[4:5], v[2:3], v[2:3] op_sel:[0,1]
	v_mov_b32_e32 v1, v6
.LBB12_840:
	s_or_b64 s[16:17], s[16:17], exec
.LBB12_841:
	s_or_b64 exec, exec, s[8:9]
	s_and_saveexec_b64 s[0:1], s[16:17]
	s_cbranch_execnz .LBB12_777
	s_branch .LBB12_778
	.section	.rodata,"a",@progbits
	.p2align	6, 0x0
	.amdhsa_kernel _ZN7rocprim17ROCPRIM_400000_NS6detail17trampoline_kernelINS0_14default_configENS1_22reduce_config_selectorIN6thrust23THRUST_200600_302600_NS5tupleIbffNS6_9null_typeES8_S8_S8_S8_S8_S8_EEEEZNS1_11reduce_implILb1ES3_PS9_SC_S9_12reduce_tupleIifEEE10hipError_tPvRmT1_T2_T3_mT4_P12ihipStream_tbEUlT_E1_NS1_11comp_targetILNS1_3genE4ELNS1_11target_archE910ELNS1_3gpuE8ELNS1_3repE0EEENS1_30default_config_static_selectorELNS0_4arch9wavefront6targetE1EEEvSI_
		.amdhsa_group_segment_fixed_size 288
		.amdhsa_private_segment_fixed_size 0
		.amdhsa_kernarg_size 48
		.amdhsa_user_sgpr_count 6
		.amdhsa_user_sgpr_private_segment_buffer 1
		.amdhsa_user_sgpr_dispatch_ptr 0
		.amdhsa_user_sgpr_queue_ptr 0
		.amdhsa_user_sgpr_kernarg_segment_ptr 1
		.amdhsa_user_sgpr_dispatch_id 0
		.amdhsa_user_sgpr_flat_scratch_init 0
		.amdhsa_user_sgpr_kernarg_preload_length 0
		.amdhsa_user_sgpr_kernarg_preload_offset 0
		.amdhsa_user_sgpr_private_segment_size 0
		.amdhsa_uses_dynamic_stack 0
		.amdhsa_system_sgpr_private_segment_wavefront_offset 0
		.amdhsa_system_sgpr_workgroup_id_x 1
		.amdhsa_system_sgpr_workgroup_id_y 0
		.amdhsa_system_sgpr_workgroup_id_z 0
		.amdhsa_system_sgpr_workgroup_info 0
		.amdhsa_system_vgpr_workitem_id 0
		.amdhsa_next_free_vgpr 60
		.amdhsa_next_free_sgpr 52
		.amdhsa_accum_offset 60
		.amdhsa_reserve_vcc 1
		.amdhsa_reserve_flat_scratch 0
		.amdhsa_float_round_mode_32 0
		.amdhsa_float_round_mode_16_64 0
		.amdhsa_float_denorm_mode_32 3
		.amdhsa_float_denorm_mode_16_64 3
		.amdhsa_dx10_clamp 1
		.amdhsa_ieee_mode 1
		.amdhsa_fp16_overflow 0
		.amdhsa_tg_split 0
		.amdhsa_exception_fp_ieee_invalid_op 0
		.amdhsa_exception_fp_denorm_src 0
		.amdhsa_exception_fp_ieee_div_zero 0
		.amdhsa_exception_fp_ieee_overflow 0
		.amdhsa_exception_fp_ieee_underflow 0
		.amdhsa_exception_fp_ieee_inexact 0
		.amdhsa_exception_int_div_zero 0
	.end_amdhsa_kernel
	.section	.text._ZN7rocprim17ROCPRIM_400000_NS6detail17trampoline_kernelINS0_14default_configENS1_22reduce_config_selectorIN6thrust23THRUST_200600_302600_NS5tupleIbffNS6_9null_typeES8_S8_S8_S8_S8_S8_EEEEZNS1_11reduce_implILb1ES3_PS9_SC_S9_12reduce_tupleIifEEE10hipError_tPvRmT1_T2_T3_mT4_P12ihipStream_tbEUlT_E1_NS1_11comp_targetILNS1_3genE4ELNS1_11target_archE910ELNS1_3gpuE8ELNS1_3repE0EEENS1_30default_config_static_selectorELNS0_4arch9wavefront6targetE1EEEvSI_,"axG",@progbits,_ZN7rocprim17ROCPRIM_400000_NS6detail17trampoline_kernelINS0_14default_configENS1_22reduce_config_selectorIN6thrust23THRUST_200600_302600_NS5tupleIbffNS6_9null_typeES8_S8_S8_S8_S8_S8_EEEEZNS1_11reduce_implILb1ES3_PS9_SC_S9_12reduce_tupleIifEEE10hipError_tPvRmT1_T2_T3_mT4_P12ihipStream_tbEUlT_E1_NS1_11comp_targetILNS1_3genE4ELNS1_11target_archE910ELNS1_3gpuE8ELNS1_3repE0EEENS1_30default_config_static_selectorELNS0_4arch9wavefront6targetE1EEEvSI_,comdat
.Lfunc_end12:
	.size	_ZN7rocprim17ROCPRIM_400000_NS6detail17trampoline_kernelINS0_14default_configENS1_22reduce_config_selectorIN6thrust23THRUST_200600_302600_NS5tupleIbffNS6_9null_typeES8_S8_S8_S8_S8_S8_EEEEZNS1_11reduce_implILb1ES3_PS9_SC_S9_12reduce_tupleIifEEE10hipError_tPvRmT1_T2_T3_mT4_P12ihipStream_tbEUlT_E1_NS1_11comp_targetILNS1_3genE4ELNS1_11target_archE910ELNS1_3gpuE8ELNS1_3repE0EEENS1_30default_config_static_selectorELNS0_4arch9wavefront6targetE1EEEvSI_, .Lfunc_end12-_ZN7rocprim17ROCPRIM_400000_NS6detail17trampoline_kernelINS0_14default_configENS1_22reduce_config_selectorIN6thrust23THRUST_200600_302600_NS5tupleIbffNS6_9null_typeES8_S8_S8_S8_S8_S8_EEEEZNS1_11reduce_implILb1ES3_PS9_SC_S9_12reduce_tupleIifEEE10hipError_tPvRmT1_T2_T3_mT4_P12ihipStream_tbEUlT_E1_NS1_11comp_targetILNS1_3genE4ELNS1_11target_archE910ELNS1_3gpuE8ELNS1_3repE0EEENS1_30default_config_static_selectorELNS0_4arch9wavefront6targetE1EEEvSI_
                                        ; -- End function
	.section	.AMDGPU.csdata,"",@progbits
; Kernel info:
; codeLenInByte = 23616
; NumSgprs: 56
; NumVgprs: 60
; NumAgprs: 0
; TotalNumVgprs: 60
; ScratchSize: 0
; MemoryBound: 0
; FloatMode: 240
; IeeeMode: 1
; LDSByteSize: 288 bytes/workgroup (compile time only)
; SGPRBlocks: 6
; VGPRBlocks: 7
; NumSGPRsForWavesPerEU: 56
; NumVGPRsForWavesPerEU: 60
; AccumOffset: 60
; Occupancy: 8
; WaveLimiterHint : 1
; COMPUTE_PGM_RSRC2:SCRATCH_EN: 0
; COMPUTE_PGM_RSRC2:USER_SGPR: 6
; COMPUTE_PGM_RSRC2:TRAP_HANDLER: 0
; COMPUTE_PGM_RSRC2:TGID_X_EN: 1
; COMPUTE_PGM_RSRC2:TGID_Y_EN: 0
; COMPUTE_PGM_RSRC2:TGID_Z_EN: 0
; COMPUTE_PGM_RSRC2:TIDIG_COMP_CNT: 0
; COMPUTE_PGM_RSRC3_GFX90A:ACCUM_OFFSET: 14
; COMPUTE_PGM_RSRC3_GFX90A:TG_SPLIT: 0
	.section	.text._ZN7rocprim17ROCPRIM_400000_NS6detail17trampoline_kernelINS0_14default_configENS1_22reduce_config_selectorIN6thrust23THRUST_200600_302600_NS5tupleIbffNS6_9null_typeES8_S8_S8_S8_S8_S8_EEEEZNS1_11reduce_implILb1ES3_PS9_SC_S9_12reduce_tupleIifEEE10hipError_tPvRmT1_T2_T3_mT4_P12ihipStream_tbEUlT_E1_NS1_11comp_targetILNS1_3genE3ELNS1_11target_archE908ELNS1_3gpuE7ELNS1_3repE0EEENS1_30default_config_static_selectorELNS0_4arch9wavefront6targetE1EEEvSI_,"axG",@progbits,_ZN7rocprim17ROCPRIM_400000_NS6detail17trampoline_kernelINS0_14default_configENS1_22reduce_config_selectorIN6thrust23THRUST_200600_302600_NS5tupleIbffNS6_9null_typeES8_S8_S8_S8_S8_S8_EEEEZNS1_11reduce_implILb1ES3_PS9_SC_S9_12reduce_tupleIifEEE10hipError_tPvRmT1_T2_T3_mT4_P12ihipStream_tbEUlT_E1_NS1_11comp_targetILNS1_3genE3ELNS1_11target_archE908ELNS1_3gpuE7ELNS1_3repE0EEENS1_30default_config_static_selectorELNS0_4arch9wavefront6targetE1EEEvSI_,comdat
	.protected	_ZN7rocprim17ROCPRIM_400000_NS6detail17trampoline_kernelINS0_14default_configENS1_22reduce_config_selectorIN6thrust23THRUST_200600_302600_NS5tupleIbffNS6_9null_typeES8_S8_S8_S8_S8_S8_EEEEZNS1_11reduce_implILb1ES3_PS9_SC_S9_12reduce_tupleIifEEE10hipError_tPvRmT1_T2_T3_mT4_P12ihipStream_tbEUlT_E1_NS1_11comp_targetILNS1_3genE3ELNS1_11target_archE908ELNS1_3gpuE7ELNS1_3repE0EEENS1_30default_config_static_selectorELNS0_4arch9wavefront6targetE1EEEvSI_ ; -- Begin function _ZN7rocprim17ROCPRIM_400000_NS6detail17trampoline_kernelINS0_14default_configENS1_22reduce_config_selectorIN6thrust23THRUST_200600_302600_NS5tupleIbffNS6_9null_typeES8_S8_S8_S8_S8_S8_EEEEZNS1_11reduce_implILb1ES3_PS9_SC_S9_12reduce_tupleIifEEE10hipError_tPvRmT1_T2_T3_mT4_P12ihipStream_tbEUlT_E1_NS1_11comp_targetILNS1_3genE3ELNS1_11target_archE908ELNS1_3gpuE7ELNS1_3repE0EEENS1_30default_config_static_selectorELNS0_4arch9wavefront6targetE1EEEvSI_
	.globl	_ZN7rocprim17ROCPRIM_400000_NS6detail17trampoline_kernelINS0_14default_configENS1_22reduce_config_selectorIN6thrust23THRUST_200600_302600_NS5tupleIbffNS6_9null_typeES8_S8_S8_S8_S8_S8_EEEEZNS1_11reduce_implILb1ES3_PS9_SC_S9_12reduce_tupleIifEEE10hipError_tPvRmT1_T2_T3_mT4_P12ihipStream_tbEUlT_E1_NS1_11comp_targetILNS1_3genE3ELNS1_11target_archE908ELNS1_3gpuE7ELNS1_3repE0EEENS1_30default_config_static_selectorELNS0_4arch9wavefront6targetE1EEEvSI_
	.p2align	8
	.type	_ZN7rocprim17ROCPRIM_400000_NS6detail17trampoline_kernelINS0_14default_configENS1_22reduce_config_selectorIN6thrust23THRUST_200600_302600_NS5tupleIbffNS6_9null_typeES8_S8_S8_S8_S8_S8_EEEEZNS1_11reduce_implILb1ES3_PS9_SC_S9_12reduce_tupleIifEEE10hipError_tPvRmT1_T2_T3_mT4_P12ihipStream_tbEUlT_E1_NS1_11comp_targetILNS1_3genE3ELNS1_11target_archE908ELNS1_3gpuE7ELNS1_3repE0EEENS1_30default_config_static_selectorELNS0_4arch9wavefront6targetE1EEEvSI_,@function
_ZN7rocprim17ROCPRIM_400000_NS6detail17trampoline_kernelINS0_14default_configENS1_22reduce_config_selectorIN6thrust23THRUST_200600_302600_NS5tupleIbffNS6_9null_typeES8_S8_S8_S8_S8_S8_EEEEZNS1_11reduce_implILb1ES3_PS9_SC_S9_12reduce_tupleIifEEE10hipError_tPvRmT1_T2_T3_mT4_P12ihipStream_tbEUlT_E1_NS1_11comp_targetILNS1_3genE3ELNS1_11target_archE908ELNS1_3gpuE7ELNS1_3repE0EEENS1_30default_config_static_selectorELNS0_4arch9wavefront6targetE1EEEvSI_: ; @_ZN7rocprim17ROCPRIM_400000_NS6detail17trampoline_kernelINS0_14default_configENS1_22reduce_config_selectorIN6thrust23THRUST_200600_302600_NS5tupleIbffNS6_9null_typeES8_S8_S8_S8_S8_S8_EEEEZNS1_11reduce_implILb1ES3_PS9_SC_S9_12reduce_tupleIifEEE10hipError_tPvRmT1_T2_T3_mT4_P12ihipStream_tbEUlT_E1_NS1_11comp_targetILNS1_3genE3ELNS1_11target_archE908ELNS1_3gpuE7ELNS1_3repE0EEENS1_30default_config_static_selectorELNS0_4arch9wavefront6targetE1EEEvSI_
; %bb.0:
	.section	.rodata,"a",@progbits
	.p2align	6, 0x0
	.amdhsa_kernel _ZN7rocprim17ROCPRIM_400000_NS6detail17trampoline_kernelINS0_14default_configENS1_22reduce_config_selectorIN6thrust23THRUST_200600_302600_NS5tupleIbffNS6_9null_typeES8_S8_S8_S8_S8_S8_EEEEZNS1_11reduce_implILb1ES3_PS9_SC_S9_12reduce_tupleIifEEE10hipError_tPvRmT1_T2_T3_mT4_P12ihipStream_tbEUlT_E1_NS1_11comp_targetILNS1_3genE3ELNS1_11target_archE908ELNS1_3gpuE7ELNS1_3repE0EEENS1_30default_config_static_selectorELNS0_4arch9wavefront6targetE1EEEvSI_
		.amdhsa_group_segment_fixed_size 0
		.amdhsa_private_segment_fixed_size 0
		.amdhsa_kernarg_size 48
		.amdhsa_user_sgpr_count 6
		.amdhsa_user_sgpr_private_segment_buffer 1
		.amdhsa_user_sgpr_dispatch_ptr 0
		.amdhsa_user_sgpr_queue_ptr 0
		.amdhsa_user_sgpr_kernarg_segment_ptr 1
		.amdhsa_user_sgpr_dispatch_id 0
		.amdhsa_user_sgpr_flat_scratch_init 0
		.amdhsa_user_sgpr_kernarg_preload_length 0
		.amdhsa_user_sgpr_kernarg_preload_offset 0
		.amdhsa_user_sgpr_private_segment_size 0
		.amdhsa_uses_dynamic_stack 0
		.amdhsa_system_sgpr_private_segment_wavefront_offset 0
		.amdhsa_system_sgpr_workgroup_id_x 1
		.amdhsa_system_sgpr_workgroup_id_y 0
		.amdhsa_system_sgpr_workgroup_id_z 0
		.amdhsa_system_sgpr_workgroup_info 0
		.amdhsa_system_vgpr_workitem_id 0
		.amdhsa_next_free_vgpr 1
		.amdhsa_next_free_sgpr 0
		.amdhsa_accum_offset 4
		.amdhsa_reserve_vcc 0
		.amdhsa_reserve_flat_scratch 0
		.amdhsa_float_round_mode_32 0
		.amdhsa_float_round_mode_16_64 0
		.amdhsa_float_denorm_mode_32 3
		.amdhsa_float_denorm_mode_16_64 3
		.amdhsa_dx10_clamp 1
		.amdhsa_ieee_mode 1
		.amdhsa_fp16_overflow 0
		.amdhsa_tg_split 0
		.amdhsa_exception_fp_ieee_invalid_op 0
		.amdhsa_exception_fp_denorm_src 0
		.amdhsa_exception_fp_ieee_div_zero 0
		.amdhsa_exception_fp_ieee_overflow 0
		.amdhsa_exception_fp_ieee_underflow 0
		.amdhsa_exception_fp_ieee_inexact 0
		.amdhsa_exception_int_div_zero 0
	.end_amdhsa_kernel
	.section	.text._ZN7rocprim17ROCPRIM_400000_NS6detail17trampoline_kernelINS0_14default_configENS1_22reduce_config_selectorIN6thrust23THRUST_200600_302600_NS5tupleIbffNS6_9null_typeES8_S8_S8_S8_S8_S8_EEEEZNS1_11reduce_implILb1ES3_PS9_SC_S9_12reduce_tupleIifEEE10hipError_tPvRmT1_T2_T3_mT4_P12ihipStream_tbEUlT_E1_NS1_11comp_targetILNS1_3genE3ELNS1_11target_archE908ELNS1_3gpuE7ELNS1_3repE0EEENS1_30default_config_static_selectorELNS0_4arch9wavefront6targetE1EEEvSI_,"axG",@progbits,_ZN7rocprim17ROCPRIM_400000_NS6detail17trampoline_kernelINS0_14default_configENS1_22reduce_config_selectorIN6thrust23THRUST_200600_302600_NS5tupleIbffNS6_9null_typeES8_S8_S8_S8_S8_S8_EEEEZNS1_11reduce_implILb1ES3_PS9_SC_S9_12reduce_tupleIifEEE10hipError_tPvRmT1_T2_T3_mT4_P12ihipStream_tbEUlT_E1_NS1_11comp_targetILNS1_3genE3ELNS1_11target_archE908ELNS1_3gpuE7ELNS1_3repE0EEENS1_30default_config_static_selectorELNS0_4arch9wavefront6targetE1EEEvSI_,comdat
.Lfunc_end13:
	.size	_ZN7rocprim17ROCPRIM_400000_NS6detail17trampoline_kernelINS0_14default_configENS1_22reduce_config_selectorIN6thrust23THRUST_200600_302600_NS5tupleIbffNS6_9null_typeES8_S8_S8_S8_S8_S8_EEEEZNS1_11reduce_implILb1ES3_PS9_SC_S9_12reduce_tupleIifEEE10hipError_tPvRmT1_T2_T3_mT4_P12ihipStream_tbEUlT_E1_NS1_11comp_targetILNS1_3genE3ELNS1_11target_archE908ELNS1_3gpuE7ELNS1_3repE0EEENS1_30default_config_static_selectorELNS0_4arch9wavefront6targetE1EEEvSI_, .Lfunc_end13-_ZN7rocprim17ROCPRIM_400000_NS6detail17trampoline_kernelINS0_14default_configENS1_22reduce_config_selectorIN6thrust23THRUST_200600_302600_NS5tupleIbffNS6_9null_typeES8_S8_S8_S8_S8_S8_EEEEZNS1_11reduce_implILb1ES3_PS9_SC_S9_12reduce_tupleIifEEE10hipError_tPvRmT1_T2_T3_mT4_P12ihipStream_tbEUlT_E1_NS1_11comp_targetILNS1_3genE3ELNS1_11target_archE908ELNS1_3gpuE7ELNS1_3repE0EEENS1_30default_config_static_selectorELNS0_4arch9wavefront6targetE1EEEvSI_
                                        ; -- End function
	.section	.AMDGPU.csdata,"",@progbits
; Kernel info:
; codeLenInByte = 0
; NumSgprs: 4
; NumVgprs: 0
; NumAgprs: 0
; TotalNumVgprs: 0
; ScratchSize: 0
; MemoryBound: 0
; FloatMode: 240
; IeeeMode: 1
; LDSByteSize: 0 bytes/workgroup (compile time only)
; SGPRBlocks: 0
; VGPRBlocks: 0
; NumSGPRsForWavesPerEU: 4
; NumVGPRsForWavesPerEU: 1
; AccumOffset: 4
; Occupancy: 8
; WaveLimiterHint : 0
; COMPUTE_PGM_RSRC2:SCRATCH_EN: 0
; COMPUTE_PGM_RSRC2:USER_SGPR: 6
; COMPUTE_PGM_RSRC2:TRAP_HANDLER: 0
; COMPUTE_PGM_RSRC2:TGID_X_EN: 1
; COMPUTE_PGM_RSRC2:TGID_Y_EN: 0
; COMPUTE_PGM_RSRC2:TGID_Z_EN: 0
; COMPUTE_PGM_RSRC2:TIDIG_COMP_CNT: 0
; COMPUTE_PGM_RSRC3_GFX90A:ACCUM_OFFSET: 0
; COMPUTE_PGM_RSRC3_GFX90A:TG_SPLIT: 0
	.section	.text._ZN7rocprim17ROCPRIM_400000_NS6detail17trampoline_kernelINS0_14default_configENS1_22reduce_config_selectorIN6thrust23THRUST_200600_302600_NS5tupleIbffNS6_9null_typeES8_S8_S8_S8_S8_S8_EEEEZNS1_11reduce_implILb1ES3_PS9_SC_S9_12reduce_tupleIifEEE10hipError_tPvRmT1_T2_T3_mT4_P12ihipStream_tbEUlT_E1_NS1_11comp_targetILNS1_3genE2ELNS1_11target_archE906ELNS1_3gpuE6ELNS1_3repE0EEENS1_30default_config_static_selectorELNS0_4arch9wavefront6targetE1EEEvSI_,"axG",@progbits,_ZN7rocprim17ROCPRIM_400000_NS6detail17trampoline_kernelINS0_14default_configENS1_22reduce_config_selectorIN6thrust23THRUST_200600_302600_NS5tupleIbffNS6_9null_typeES8_S8_S8_S8_S8_S8_EEEEZNS1_11reduce_implILb1ES3_PS9_SC_S9_12reduce_tupleIifEEE10hipError_tPvRmT1_T2_T3_mT4_P12ihipStream_tbEUlT_E1_NS1_11comp_targetILNS1_3genE2ELNS1_11target_archE906ELNS1_3gpuE6ELNS1_3repE0EEENS1_30default_config_static_selectorELNS0_4arch9wavefront6targetE1EEEvSI_,comdat
	.protected	_ZN7rocprim17ROCPRIM_400000_NS6detail17trampoline_kernelINS0_14default_configENS1_22reduce_config_selectorIN6thrust23THRUST_200600_302600_NS5tupleIbffNS6_9null_typeES8_S8_S8_S8_S8_S8_EEEEZNS1_11reduce_implILb1ES3_PS9_SC_S9_12reduce_tupleIifEEE10hipError_tPvRmT1_T2_T3_mT4_P12ihipStream_tbEUlT_E1_NS1_11comp_targetILNS1_3genE2ELNS1_11target_archE906ELNS1_3gpuE6ELNS1_3repE0EEENS1_30default_config_static_selectorELNS0_4arch9wavefront6targetE1EEEvSI_ ; -- Begin function _ZN7rocprim17ROCPRIM_400000_NS6detail17trampoline_kernelINS0_14default_configENS1_22reduce_config_selectorIN6thrust23THRUST_200600_302600_NS5tupleIbffNS6_9null_typeES8_S8_S8_S8_S8_S8_EEEEZNS1_11reduce_implILb1ES3_PS9_SC_S9_12reduce_tupleIifEEE10hipError_tPvRmT1_T2_T3_mT4_P12ihipStream_tbEUlT_E1_NS1_11comp_targetILNS1_3genE2ELNS1_11target_archE906ELNS1_3gpuE6ELNS1_3repE0EEENS1_30default_config_static_selectorELNS0_4arch9wavefront6targetE1EEEvSI_
	.globl	_ZN7rocprim17ROCPRIM_400000_NS6detail17trampoline_kernelINS0_14default_configENS1_22reduce_config_selectorIN6thrust23THRUST_200600_302600_NS5tupleIbffNS6_9null_typeES8_S8_S8_S8_S8_S8_EEEEZNS1_11reduce_implILb1ES3_PS9_SC_S9_12reduce_tupleIifEEE10hipError_tPvRmT1_T2_T3_mT4_P12ihipStream_tbEUlT_E1_NS1_11comp_targetILNS1_3genE2ELNS1_11target_archE906ELNS1_3gpuE6ELNS1_3repE0EEENS1_30default_config_static_selectorELNS0_4arch9wavefront6targetE1EEEvSI_
	.p2align	8
	.type	_ZN7rocprim17ROCPRIM_400000_NS6detail17trampoline_kernelINS0_14default_configENS1_22reduce_config_selectorIN6thrust23THRUST_200600_302600_NS5tupleIbffNS6_9null_typeES8_S8_S8_S8_S8_S8_EEEEZNS1_11reduce_implILb1ES3_PS9_SC_S9_12reduce_tupleIifEEE10hipError_tPvRmT1_T2_T3_mT4_P12ihipStream_tbEUlT_E1_NS1_11comp_targetILNS1_3genE2ELNS1_11target_archE906ELNS1_3gpuE6ELNS1_3repE0EEENS1_30default_config_static_selectorELNS0_4arch9wavefront6targetE1EEEvSI_,@function
_ZN7rocprim17ROCPRIM_400000_NS6detail17trampoline_kernelINS0_14default_configENS1_22reduce_config_selectorIN6thrust23THRUST_200600_302600_NS5tupleIbffNS6_9null_typeES8_S8_S8_S8_S8_S8_EEEEZNS1_11reduce_implILb1ES3_PS9_SC_S9_12reduce_tupleIifEEE10hipError_tPvRmT1_T2_T3_mT4_P12ihipStream_tbEUlT_E1_NS1_11comp_targetILNS1_3genE2ELNS1_11target_archE906ELNS1_3gpuE6ELNS1_3repE0EEENS1_30default_config_static_selectorELNS0_4arch9wavefront6targetE1EEEvSI_: ; @_ZN7rocprim17ROCPRIM_400000_NS6detail17trampoline_kernelINS0_14default_configENS1_22reduce_config_selectorIN6thrust23THRUST_200600_302600_NS5tupleIbffNS6_9null_typeES8_S8_S8_S8_S8_S8_EEEEZNS1_11reduce_implILb1ES3_PS9_SC_S9_12reduce_tupleIifEEE10hipError_tPvRmT1_T2_T3_mT4_P12ihipStream_tbEUlT_E1_NS1_11comp_targetILNS1_3genE2ELNS1_11target_archE906ELNS1_3gpuE6ELNS1_3repE0EEENS1_30default_config_static_selectorELNS0_4arch9wavefront6targetE1EEEvSI_
; %bb.0:
	.section	.rodata,"a",@progbits
	.p2align	6, 0x0
	.amdhsa_kernel _ZN7rocprim17ROCPRIM_400000_NS6detail17trampoline_kernelINS0_14default_configENS1_22reduce_config_selectorIN6thrust23THRUST_200600_302600_NS5tupleIbffNS6_9null_typeES8_S8_S8_S8_S8_S8_EEEEZNS1_11reduce_implILb1ES3_PS9_SC_S9_12reduce_tupleIifEEE10hipError_tPvRmT1_T2_T3_mT4_P12ihipStream_tbEUlT_E1_NS1_11comp_targetILNS1_3genE2ELNS1_11target_archE906ELNS1_3gpuE6ELNS1_3repE0EEENS1_30default_config_static_selectorELNS0_4arch9wavefront6targetE1EEEvSI_
		.amdhsa_group_segment_fixed_size 0
		.amdhsa_private_segment_fixed_size 0
		.amdhsa_kernarg_size 48
		.amdhsa_user_sgpr_count 6
		.amdhsa_user_sgpr_private_segment_buffer 1
		.amdhsa_user_sgpr_dispatch_ptr 0
		.amdhsa_user_sgpr_queue_ptr 0
		.amdhsa_user_sgpr_kernarg_segment_ptr 1
		.amdhsa_user_sgpr_dispatch_id 0
		.amdhsa_user_sgpr_flat_scratch_init 0
		.amdhsa_user_sgpr_kernarg_preload_length 0
		.amdhsa_user_sgpr_kernarg_preload_offset 0
		.amdhsa_user_sgpr_private_segment_size 0
		.amdhsa_uses_dynamic_stack 0
		.amdhsa_system_sgpr_private_segment_wavefront_offset 0
		.amdhsa_system_sgpr_workgroup_id_x 1
		.amdhsa_system_sgpr_workgroup_id_y 0
		.amdhsa_system_sgpr_workgroup_id_z 0
		.amdhsa_system_sgpr_workgroup_info 0
		.amdhsa_system_vgpr_workitem_id 0
		.amdhsa_next_free_vgpr 1
		.amdhsa_next_free_sgpr 0
		.amdhsa_accum_offset 4
		.amdhsa_reserve_vcc 0
		.amdhsa_reserve_flat_scratch 0
		.amdhsa_float_round_mode_32 0
		.amdhsa_float_round_mode_16_64 0
		.amdhsa_float_denorm_mode_32 3
		.amdhsa_float_denorm_mode_16_64 3
		.amdhsa_dx10_clamp 1
		.amdhsa_ieee_mode 1
		.amdhsa_fp16_overflow 0
		.amdhsa_tg_split 0
		.amdhsa_exception_fp_ieee_invalid_op 0
		.amdhsa_exception_fp_denorm_src 0
		.amdhsa_exception_fp_ieee_div_zero 0
		.amdhsa_exception_fp_ieee_overflow 0
		.amdhsa_exception_fp_ieee_underflow 0
		.amdhsa_exception_fp_ieee_inexact 0
		.amdhsa_exception_int_div_zero 0
	.end_amdhsa_kernel
	.section	.text._ZN7rocprim17ROCPRIM_400000_NS6detail17trampoline_kernelINS0_14default_configENS1_22reduce_config_selectorIN6thrust23THRUST_200600_302600_NS5tupleIbffNS6_9null_typeES8_S8_S8_S8_S8_S8_EEEEZNS1_11reduce_implILb1ES3_PS9_SC_S9_12reduce_tupleIifEEE10hipError_tPvRmT1_T2_T3_mT4_P12ihipStream_tbEUlT_E1_NS1_11comp_targetILNS1_3genE2ELNS1_11target_archE906ELNS1_3gpuE6ELNS1_3repE0EEENS1_30default_config_static_selectorELNS0_4arch9wavefront6targetE1EEEvSI_,"axG",@progbits,_ZN7rocprim17ROCPRIM_400000_NS6detail17trampoline_kernelINS0_14default_configENS1_22reduce_config_selectorIN6thrust23THRUST_200600_302600_NS5tupleIbffNS6_9null_typeES8_S8_S8_S8_S8_S8_EEEEZNS1_11reduce_implILb1ES3_PS9_SC_S9_12reduce_tupleIifEEE10hipError_tPvRmT1_T2_T3_mT4_P12ihipStream_tbEUlT_E1_NS1_11comp_targetILNS1_3genE2ELNS1_11target_archE906ELNS1_3gpuE6ELNS1_3repE0EEENS1_30default_config_static_selectorELNS0_4arch9wavefront6targetE1EEEvSI_,comdat
.Lfunc_end14:
	.size	_ZN7rocprim17ROCPRIM_400000_NS6detail17trampoline_kernelINS0_14default_configENS1_22reduce_config_selectorIN6thrust23THRUST_200600_302600_NS5tupleIbffNS6_9null_typeES8_S8_S8_S8_S8_S8_EEEEZNS1_11reduce_implILb1ES3_PS9_SC_S9_12reduce_tupleIifEEE10hipError_tPvRmT1_T2_T3_mT4_P12ihipStream_tbEUlT_E1_NS1_11comp_targetILNS1_3genE2ELNS1_11target_archE906ELNS1_3gpuE6ELNS1_3repE0EEENS1_30default_config_static_selectorELNS0_4arch9wavefront6targetE1EEEvSI_, .Lfunc_end14-_ZN7rocprim17ROCPRIM_400000_NS6detail17trampoline_kernelINS0_14default_configENS1_22reduce_config_selectorIN6thrust23THRUST_200600_302600_NS5tupleIbffNS6_9null_typeES8_S8_S8_S8_S8_S8_EEEEZNS1_11reduce_implILb1ES3_PS9_SC_S9_12reduce_tupleIifEEE10hipError_tPvRmT1_T2_T3_mT4_P12ihipStream_tbEUlT_E1_NS1_11comp_targetILNS1_3genE2ELNS1_11target_archE906ELNS1_3gpuE6ELNS1_3repE0EEENS1_30default_config_static_selectorELNS0_4arch9wavefront6targetE1EEEvSI_
                                        ; -- End function
	.section	.AMDGPU.csdata,"",@progbits
; Kernel info:
; codeLenInByte = 0
; NumSgprs: 4
; NumVgprs: 0
; NumAgprs: 0
; TotalNumVgprs: 0
; ScratchSize: 0
; MemoryBound: 0
; FloatMode: 240
; IeeeMode: 1
; LDSByteSize: 0 bytes/workgroup (compile time only)
; SGPRBlocks: 0
; VGPRBlocks: 0
; NumSGPRsForWavesPerEU: 4
; NumVGPRsForWavesPerEU: 1
; AccumOffset: 4
; Occupancy: 8
; WaveLimiterHint : 0
; COMPUTE_PGM_RSRC2:SCRATCH_EN: 0
; COMPUTE_PGM_RSRC2:USER_SGPR: 6
; COMPUTE_PGM_RSRC2:TRAP_HANDLER: 0
; COMPUTE_PGM_RSRC2:TGID_X_EN: 1
; COMPUTE_PGM_RSRC2:TGID_Y_EN: 0
; COMPUTE_PGM_RSRC2:TGID_Z_EN: 0
; COMPUTE_PGM_RSRC2:TIDIG_COMP_CNT: 0
; COMPUTE_PGM_RSRC3_GFX90A:ACCUM_OFFSET: 0
; COMPUTE_PGM_RSRC3_GFX90A:TG_SPLIT: 0
	.section	.text._ZN7rocprim17ROCPRIM_400000_NS6detail17trampoline_kernelINS0_14default_configENS1_22reduce_config_selectorIN6thrust23THRUST_200600_302600_NS5tupleIbffNS6_9null_typeES8_S8_S8_S8_S8_S8_EEEEZNS1_11reduce_implILb1ES3_PS9_SC_S9_12reduce_tupleIifEEE10hipError_tPvRmT1_T2_T3_mT4_P12ihipStream_tbEUlT_E1_NS1_11comp_targetILNS1_3genE10ELNS1_11target_archE1201ELNS1_3gpuE5ELNS1_3repE0EEENS1_30default_config_static_selectorELNS0_4arch9wavefront6targetE1EEEvSI_,"axG",@progbits,_ZN7rocprim17ROCPRIM_400000_NS6detail17trampoline_kernelINS0_14default_configENS1_22reduce_config_selectorIN6thrust23THRUST_200600_302600_NS5tupleIbffNS6_9null_typeES8_S8_S8_S8_S8_S8_EEEEZNS1_11reduce_implILb1ES3_PS9_SC_S9_12reduce_tupleIifEEE10hipError_tPvRmT1_T2_T3_mT4_P12ihipStream_tbEUlT_E1_NS1_11comp_targetILNS1_3genE10ELNS1_11target_archE1201ELNS1_3gpuE5ELNS1_3repE0EEENS1_30default_config_static_selectorELNS0_4arch9wavefront6targetE1EEEvSI_,comdat
	.protected	_ZN7rocprim17ROCPRIM_400000_NS6detail17trampoline_kernelINS0_14default_configENS1_22reduce_config_selectorIN6thrust23THRUST_200600_302600_NS5tupleIbffNS6_9null_typeES8_S8_S8_S8_S8_S8_EEEEZNS1_11reduce_implILb1ES3_PS9_SC_S9_12reduce_tupleIifEEE10hipError_tPvRmT1_T2_T3_mT4_P12ihipStream_tbEUlT_E1_NS1_11comp_targetILNS1_3genE10ELNS1_11target_archE1201ELNS1_3gpuE5ELNS1_3repE0EEENS1_30default_config_static_selectorELNS0_4arch9wavefront6targetE1EEEvSI_ ; -- Begin function _ZN7rocprim17ROCPRIM_400000_NS6detail17trampoline_kernelINS0_14default_configENS1_22reduce_config_selectorIN6thrust23THRUST_200600_302600_NS5tupleIbffNS6_9null_typeES8_S8_S8_S8_S8_S8_EEEEZNS1_11reduce_implILb1ES3_PS9_SC_S9_12reduce_tupleIifEEE10hipError_tPvRmT1_T2_T3_mT4_P12ihipStream_tbEUlT_E1_NS1_11comp_targetILNS1_3genE10ELNS1_11target_archE1201ELNS1_3gpuE5ELNS1_3repE0EEENS1_30default_config_static_selectorELNS0_4arch9wavefront6targetE1EEEvSI_
	.globl	_ZN7rocprim17ROCPRIM_400000_NS6detail17trampoline_kernelINS0_14default_configENS1_22reduce_config_selectorIN6thrust23THRUST_200600_302600_NS5tupleIbffNS6_9null_typeES8_S8_S8_S8_S8_S8_EEEEZNS1_11reduce_implILb1ES3_PS9_SC_S9_12reduce_tupleIifEEE10hipError_tPvRmT1_T2_T3_mT4_P12ihipStream_tbEUlT_E1_NS1_11comp_targetILNS1_3genE10ELNS1_11target_archE1201ELNS1_3gpuE5ELNS1_3repE0EEENS1_30default_config_static_selectorELNS0_4arch9wavefront6targetE1EEEvSI_
	.p2align	8
	.type	_ZN7rocprim17ROCPRIM_400000_NS6detail17trampoline_kernelINS0_14default_configENS1_22reduce_config_selectorIN6thrust23THRUST_200600_302600_NS5tupleIbffNS6_9null_typeES8_S8_S8_S8_S8_S8_EEEEZNS1_11reduce_implILb1ES3_PS9_SC_S9_12reduce_tupleIifEEE10hipError_tPvRmT1_T2_T3_mT4_P12ihipStream_tbEUlT_E1_NS1_11comp_targetILNS1_3genE10ELNS1_11target_archE1201ELNS1_3gpuE5ELNS1_3repE0EEENS1_30default_config_static_selectorELNS0_4arch9wavefront6targetE1EEEvSI_,@function
_ZN7rocprim17ROCPRIM_400000_NS6detail17trampoline_kernelINS0_14default_configENS1_22reduce_config_selectorIN6thrust23THRUST_200600_302600_NS5tupleIbffNS6_9null_typeES8_S8_S8_S8_S8_S8_EEEEZNS1_11reduce_implILb1ES3_PS9_SC_S9_12reduce_tupleIifEEE10hipError_tPvRmT1_T2_T3_mT4_P12ihipStream_tbEUlT_E1_NS1_11comp_targetILNS1_3genE10ELNS1_11target_archE1201ELNS1_3gpuE5ELNS1_3repE0EEENS1_30default_config_static_selectorELNS0_4arch9wavefront6targetE1EEEvSI_: ; @_ZN7rocprim17ROCPRIM_400000_NS6detail17trampoline_kernelINS0_14default_configENS1_22reduce_config_selectorIN6thrust23THRUST_200600_302600_NS5tupleIbffNS6_9null_typeES8_S8_S8_S8_S8_S8_EEEEZNS1_11reduce_implILb1ES3_PS9_SC_S9_12reduce_tupleIifEEE10hipError_tPvRmT1_T2_T3_mT4_P12ihipStream_tbEUlT_E1_NS1_11comp_targetILNS1_3genE10ELNS1_11target_archE1201ELNS1_3gpuE5ELNS1_3repE0EEENS1_30default_config_static_selectorELNS0_4arch9wavefront6targetE1EEEvSI_
; %bb.0:
	.section	.rodata,"a",@progbits
	.p2align	6, 0x0
	.amdhsa_kernel _ZN7rocprim17ROCPRIM_400000_NS6detail17trampoline_kernelINS0_14default_configENS1_22reduce_config_selectorIN6thrust23THRUST_200600_302600_NS5tupleIbffNS6_9null_typeES8_S8_S8_S8_S8_S8_EEEEZNS1_11reduce_implILb1ES3_PS9_SC_S9_12reduce_tupleIifEEE10hipError_tPvRmT1_T2_T3_mT4_P12ihipStream_tbEUlT_E1_NS1_11comp_targetILNS1_3genE10ELNS1_11target_archE1201ELNS1_3gpuE5ELNS1_3repE0EEENS1_30default_config_static_selectorELNS0_4arch9wavefront6targetE1EEEvSI_
		.amdhsa_group_segment_fixed_size 0
		.amdhsa_private_segment_fixed_size 0
		.amdhsa_kernarg_size 48
		.amdhsa_user_sgpr_count 6
		.amdhsa_user_sgpr_private_segment_buffer 1
		.amdhsa_user_sgpr_dispatch_ptr 0
		.amdhsa_user_sgpr_queue_ptr 0
		.amdhsa_user_sgpr_kernarg_segment_ptr 1
		.amdhsa_user_sgpr_dispatch_id 0
		.amdhsa_user_sgpr_flat_scratch_init 0
		.amdhsa_user_sgpr_kernarg_preload_length 0
		.amdhsa_user_sgpr_kernarg_preload_offset 0
		.amdhsa_user_sgpr_private_segment_size 0
		.amdhsa_uses_dynamic_stack 0
		.amdhsa_system_sgpr_private_segment_wavefront_offset 0
		.amdhsa_system_sgpr_workgroup_id_x 1
		.amdhsa_system_sgpr_workgroup_id_y 0
		.amdhsa_system_sgpr_workgroup_id_z 0
		.amdhsa_system_sgpr_workgroup_info 0
		.amdhsa_system_vgpr_workitem_id 0
		.amdhsa_next_free_vgpr 1
		.amdhsa_next_free_sgpr 0
		.amdhsa_accum_offset 4
		.amdhsa_reserve_vcc 0
		.amdhsa_reserve_flat_scratch 0
		.amdhsa_float_round_mode_32 0
		.amdhsa_float_round_mode_16_64 0
		.amdhsa_float_denorm_mode_32 3
		.amdhsa_float_denorm_mode_16_64 3
		.amdhsa_dx10_clamp 1
		.amdhsa_ieee_mode 1
		.amdhsa_fp16_overflow 0
		.amdhsa_tg_split 0
		.amdhsa_exception_fp_ieee_invalid_op 0
		.amdhsa_exception_fp_denorm_src 0
		.amdhsa_exception_fp_ieee_div_zero 0
		.amdhsa_exception_fp_ieee_overflow 0
		.amdhsa_exception_fp_ieee_underflow 0
		.amdhsa_exception_fp_ieee_inexact 0
		.amdhsa_exception_int_div_zero 0
	.end_amdhsa_kernel
	.section	.text._ZN7rocprim17ROCPRIM_400000_NS6detail17trampoline_kernelINS0_14default_configENS1_22reduce_config_selectorIN6thrust23THRUST_200600_302600_NS5tupleIbffNS6_9null_typeES8_S8_S8_S8_S8_S8_EEEEZNS1_11reduce_implILb1ES3_PS9_SC_S9_12reduce_tupleIifEEE10hipError_tPvRmT1_T2_T3_mT4_P12ihipStream_tbEUlT_E1_NS1_11comp_targetILNS1_3genE10ELNS1_11target_archE1201ELNS1_3gpuE5ELNS1_3repE0EEENS1_30default_config_static_selectorELNS0_4arch9wavefront6targetE1EEEvSI_,"axG",@progbits,_ZN7rocprim17ROCPRIM_400000_NS6detail17trampoline_kernelINS0_14default_configENS1_22reduce_config_selectorIN6thrust23THRUST_200600_302600_NS5tupleIbffNS6_9null_typeES8_S8_S8_S8_S8_S8_EEEEZNS1_11reduce_implILb1ES3_PS9_SC_S9_12reduce_tupleIifEEE10hipError_tPvRmT1_T2_T3_mT4_P12ihipStream_tbEUlT_E1_NS1_11comp_targetILNS1_3genE10ELNS1_11target_archE1201ELNS1_3gpuE5ELNS1_3repE0EEENS1_30default_config_static_selectorELNS0_4arch9wavefront6targetE1EEEvSI_,comdat
.Lfunc_end15:
	.size	_ZN7rocprim17ROCPRIM_400000_NS6detail17trampoline_kernelINS0_14default_configENS1_22reduce_config_selectorIN6thrust23THRUST_200600_302600_NS5tupleIbffNS6_9null_typeES8_S8_S8_S8_S8_S8_EEEEZNS1_11reduce_implILb1ES3_PS9_SC_S9_12reduce_tupleIifEEE10hipError_tPvRmT1_T2_T3_mT4_P12ihipStream_tbEUlT_E1_NS1_11comp_targetILNS1_3genE10ELNS1_11target_archE1201ELNS1_3gpuE5ELNS1_3repE0EEENS1_30default_config_static_selectorELNS0_4arch9wavefront6targetE1EEEvSI_, .Lfunc_end15-_ZN7rocprim17ROCPRIM_400000_NS6detail17trampoline_kernelINS0_14default_configENS1_22reduce_config_selectorIN6thrust23THRUST_200600_302600_NS5tupleIbffNS6_9null_typeES8_S8_S8_S8_S8_S8_EEEEZNS1_11reduce_implILb1ES3_PS9_SC_S9_12reduce_tupleIifEEE10hipError_tPvRmT1_T2_T3_mT4_P12ihipStream_tbEUlT_E1_NS1_11comp_targetILNS1_3genE10ELNS1_11target_archE1201ELNS1_3gpuE5ELNS1_3repE0EEENS1_30default_config_static_selectorELNS0_4arch9wavefront6targetE1EEEvSI_
                                        ; -- End function
	.section	.AMDGPU.csdata,"",@progbits
; Kernel info:
; codeLenInByte = 0
; NumSgprs: 4
; NumVgprs: 0
; NumAgprs: 0
; TotalNumVgprs: 0
; ScratchSize: 0
; MemoryBound: 0
; FloatMode: 240
; IeeeMode: 1
; LDSByteSize: 0 bytes/workgroup (compile time only)
; SGPRBlocks: 0
; VGPRBlocks: 0
; NumSGPRsForWavesPerEU: 4
; NumVGPRsForWavesPerEU: 1
; AccumOffset: 4
; Occupancy: 8
; WaveLimiterHint : 0
; COMPUTE_PGM_RSRC2:SCRATCH_EN: 0
; COMPUTE_PGM_RSRC2:USER_SGPR: 6
; COMPUTE_PGM_RSRC2:TRAP_HANDLER: 0
; COMPUTE_PGM_RSRC2:TGID_X_EN: 1
; COMPUTE_PGM_RSRC2:TGID_Y_EN: 0
; COMPUTE_PGM_RSRC2:TGID_Z_EN: 0
; COMPUTE_PGM_RSRC2:TIDIG_COMP_CNT: 0
; COMPUTE_PGM_RSRC3_GFX90A:ACCUM_OFFSET: 0
; COMPUTE_PGM_RSRC3_GFX90A:TG_SPLIT: 0
	.section	.text._ZN7rocprim17ROCPRIM_400000_NS6detail17trampoline_kernelINS0_14default_configENS1_22reduce_config_selectorIN6thrust23THRUST_200600_302600_NS5tupleIbffNS6_9null_typeES8_S8_S8_S8_S8_S8_EEEEZNS1_11reduce_implILb1ES3_PS9_SC_S9_12reduce_tupleIifEEE10hipError_tPvRmT1_T2_T3_mT4_P12ihipStream_tbEUlT_E1_NS1_11comp_targetILNS1_3genE10ELNS1_11target_archE1200ELNS1_3gpuE4ELNS1_3repE0EEENS1_30default_config_static_selectorELNS0_4arch9wavefront6targetE1EEEvSI_,"axG",@progbits,_ZN7rocprim17ROCPRIM_400000_NS6detail17trampoline_kernelINS0_14default_configENS1_22reduce_config_selectorIN6thrust23THRUST_200600_302600_NS5tupleIbffNS6_9null_typeES8_S8_S8_S8_S8_S8_EEEEZNS1_11reduce_implILb1ES3_PS9_SC_S9_12reduce_tupleIifEEE10hipError_tPvRmT1_T2_T3_mT4_P12ihipStream_tbEUlT_E1_NS1_11comp_targetILNS1_3genE10ELNS1_11target_archE1200ELNS1_3gpuE4ELNS1_3repE0EEENS1_30default_config_static_selectorELNS0_4arch9wavefront6targetE1EEEvSI_,comdat
	.protected	_ZN7rocprim17ROCPRIM_400000_NS6detail17trampoline_kernelINS0_14default_configENS1_22reduce_config_selectorIN6thrust23THRUST_200600_302600_NS5tupleIbffNS6_9null_typeES8_S8_S8_S8_S8_S8_EEEEZNS1_11reduce_implILb1ES3_PS9_SC_S9_12reduce_tupleIifEEE10hipError_tPvRmT1_T2_T3_mT4_P12ihipStream_tbEUlT_E1_NS1_11comp_targetILNS1_3genE10ELNS1_11target_archE1200ELNS1_3gpuE4ELNS1_3repE0EEENS1_30default_config_static_selectorELNS0_4arch9wavefront6targetE1EEEvSI_ ; -- Begin function _ZN7rocprim17ROCPRIM_400000_NS6detail17trampoline_kernelINS0_14default_configENS1_22reduce_config_selectorIN6thrust23THRUST_200600_302600_NS5tupleIbffNS6_9null_typeES8_S8_S8_S8_S8_S8_EEEEZNS1_11reduce_implILb1ES3_PS9_SC_S9_12reduce_tupleIifEEE10hipError_tPvRmT1_T2_T3_mT4_P12ihipStream_tbEUlT_E1_NS1_11comp_targetILNS1_3genE10ELNS1_11target_archE1200ELNS1_3gpuE4ELNS1_3repE0EEENS1_30default_config_static_selectorELNS0_4arch9wavefront6targetE1EEEvSI_
	.globl	_ZN7rocprim17ROCPRIM_400000_NS6detail17trampoline_kernelINS0_14default_configENS1_22reduce_config_selectorIN6thrust23THRUST_200600_302600_NS5tupleIbffNS6_9null_typeES8_S8_S8_S8_S8_S8_EEEEZNS1_11reduce_implILb1ES3_PS9_SC_S9_12reduce_tupleIifEEE10hipError_tPvRmT1_T2_T3_mT4_P12ihipStream_tbEUlT_E1_NS1_11comp_targetILNS1_3genE10ELNS1_11target_archE1200ELNS1_3gpuE4ELNS1_3repE0EEENS1_30default_config_static_selectorELNS0_4arch9wavefront6targetE1EEEvSI_
	.p2align	8
	.type	_ZN7rocprim17ROCPRIM_400000_NS6detail17trampoline_kernelINS0_14default_configENS1_22reduce_config_selectorIN6thrust23THRUST_200600_302600_NS5tupleIbffNS6_9null_typeES8_S8_S8_S8_S8_S8_EEEEZNS1_11reduce_implILb1ES3_PS9_SC_S9_12reduce_tupleIifEEE10hipError_tPvRmT1_T2_T3_mT4_P12ihipStream_tbEUlT_E1_NS1_11comp_targetILNS1_3genE10ELNS1_11target_archE1200ELNS1_3gpuE4ELNS1_3repE0EEENS1_30default_config_static_selectorELNS0_4arch9wavefront6targetE1EEEvSI_,@function
_ZN7rocprim17ROCPRIM_400000_NS6detail17trampoline_kernelINS0_14default_configENS1_22reduce_config_selectorIN6thrust23THRUST_200600_302600_NS5tupleIbffNS6_9null_typeES8_S8_S8_S8_S8_S8_EEEEZNS1_11reduce_implILb1ES3_PS9_SC_S9_12reduce_tupleIifEEE10hipError_tPvRmT1_T2_T3_mT4_P12ihipStream_tbEUlT_E1_NS1_11comp_targetILNS1_3genE10ELNS1_11target_archE1200ELNS1_3gpuE4ELNS1_3repE0EEENS1_30default_config_static_selectorELNS0_4arch9wavefront6targetE1EEEvSI_: ; @_ZN7rocprim17ROCPRIM_400000_NS6detail17trampoline_kernelINS0_14default_configENS1_22reduce_config_selectorIN6thrust23THRUST_200600_302600_NS5tupleIbffNS6_9null_typeES8_S8_S8_S8_S8_S8_EEEEZNS1_11reduce_implILb1ES3_PS9_SC_S9_12reduce_tupleIifEEE10hipError_tPvRmT1_T2_T3_mT4_P12ihipStream_tbEUlT_E1_NS1_11comp_targetILNS1_3genE10ELNS1_11target_archE1200ELNS1_3gpuE4ELNS1_3repE0EEENS1_30default_config_static_selectorELNS0_4arch9wavefront6targetE1EEEvSI_
; %bb.0:
	.section	.rodata,"a",@progbits
	.p2align	6, 0x0
	.amdhsa_kernel _ZN7rocprim17ROCPRIM_400000_NS6detail17trampoline_kernelINS0_14default_configENS1_22reduce_config_selectorIN6thrust23THRUST_200600_302600_NS5tupleIbffNS6_9null_typeES8_S8_S8_S8_S8_S8_EEEEZNS1_11reduce_implILb1ES3_PS9_SC_S9_12reduce_tupleIifEEE10hipError_tPvRmT1_T2_T3_mT4_P12ihipStream_tbEUlT_E1_NS1_11comp_targetILNS1_3genE10ELNS1_11target_archE1200ELNS1_3gpuE4ELNS1_3repE0EEENS1_30default_config_static_selectorELNS0_4arch9wavefront6targetE1EEEvSI_
		.amdhsa_group_segment_fixed_size 0
		.amdhsa_private_segment_fixed_size 0
		.amdhsa_kernarg_size 48
		.amdhsa_user_sgpr_count 6
		.amdhsa_user_sgpr_private_segment_buffer 1
		.amdhsa_user_sgpr_dispatch_ptr 0
		.amdhsa_user_sgpr_queue_ptr 0
		.amdhsa_user_sgpr_kernarg_segment_ptr 1
		.amdhsa_user_sgpr_dispatch_id 0
		.amdhsa_user_sgpr_flat_scratch_init 0
		.amdhsa_user_sgpr_kernarg_preload_length 0
		.amdhsa_user_sgpr_kernarg_preload_offset 0
		.amdhsa_user_sgpr_private_segment_size 0
		.amdhsa_uses_dynamic_stack 0
		.amdhsa_system_sgpr_private_segment_wavefront_offset 0
		.amdhsa_system_sgpr_workgroup_id_x 1
		.amdhsa_system_sgpr_workgroup_id_y 0
		.amdhsa_system_sgpr_workgroup_id_z 0
		.amdhsa_system_sgpr_workgroup_info 0
		.amdhsa_system_vgpr_workitem_id 0
		.amdhsa_next_free_vgpr 1
		.amdhsa_next_free_sgpr 0
		.amdhsa_accum_offset 4
		.amdhsa_reserve_vcc 0
		.amdhsa_reserve_flat_scratch 0
		.amdhsa_float_round_mode_32 0
		.amdhsa_float_round_mode_16_64 0
		.amdhsa_float_denorm_mode_32 3
		.amdhsa_float_denorm_mode_16_64 3
		.amdhsa_dx10_clamp 1
		.amdhsa_ieee_mode 1
		.amdhsa_fp16_overflow 0
		.amdhsa_tg_split 0
		.amdhsa_exception_fp_ieee_invalid_op 0
		.amdhsa_exception_fp_denorm_src 0
		.amdhsa_exception_fp_ieee_div_zero 0
		.amdhsa_exception_fp_ieee_overflow 0
		.amdhsa_exception_fp_ieee_underflow 0
		.amdhsa_exception_fp_ieee_inexact 0
		.amdhsa_exception_int_div_zero 0
	.end_amdhsa_kernel
	.section	.text._ZN7rocprim17ROCPRIM_400000_NS6detail17trampoline_kernelINS0_14default_configENS1_22reduce_config_selectorIN6thrust23THRUST_200600_302600_NS5tupleIbffNS6_9null_typeES8_S8_S8_S8_S8_S8_EEEEZNS1_11reduce_implILb1ES3_PS9_SC_S9_12reduce_tupleIifEEE10hipError_tPvRmT1_T2_T3_mT4_P12ihipStream_tbEUlT_E1_NS1_11comp_targetILNS1_3genE10ELNS1_11target_archE1200ELNS1_3gpuE4ELNS1_3repE0EEENS1_30default_config_static_selectorELNS0_4arch9wavefront6targetE1EEEvSI_,"axG",@progbits,_ZN7rocprim17ROCPRIM_400000_NS6detail17trampoline_kernelINS0_14default_configENS1_22reduce_config_selectorIN6thrust23THRUST_200600_302600_NS5tupleIbffNS6_9null_typeES8_S8_S8_S8_S8_S8_EEEEZNS1_11reduce_implILb1ES3_PS9_SC_S9_12reduce_tupleIifEEE10hipError_tPvRmT1_T2_T3_mT4_P12ihipStream_tbEUlT_E1_NS1_11comp_targetILNS1_3genE10ELNS1_11target_archE1200ELNS1_3gpuE4ELNS1_3repE0EEENS1_30default_config_static_selectorELNS0_4arch9wavefront6targetE1EEEvSI_,comdat
.Lfunc_end16:
	.size	_ZN7rocprim17ROCPRIM_400000_NS6detail17trampoline_kernelINS0_14default_configENS1_22reduce_config_selectorIN6thrust23THRUST_200600_302600_NS5tupleIbffNS6_9null_typeES8_S8_S8_S8_S8_S8_EEEEZNS1_11reduce_implILb1ES3_PS9_SC_S9_12reduce_tupleIifEEE10hipError_tPvRmT1_T2_T3_mT4_P12ihipStream_tbEUlT_E1_NS1_11comp_targetILNS1_3genE10ELNS1_11target_archE1200ELNS1_3gpuE4ELNS1_3repE0EEENS1_30default_config_static_selectorELNS0_4arch9wavefront6targetE1EEEvSI_, .Lfunc_end16-_ZN7rocprim17ROCPRIM_400000_NS6detail17trampoline_kernelINS0_14default_configENS1_22reduce_config_selectorIN6thrust23THRUST_200600_302600_NS5tupleIbffNS6_9null_typeES8_S8_S8_S8_S8_S8_EEEEZNS1_11reduce_implILb1ES3_PS9_SC_S9_12reduce_tupleIifEEE10hipError_tPvRmT1_T2_T3_mT4_P12ihipStream_tbEUlT_E1_NS1_11comp_targetILNS1_3genE10ELNS1_11target_archE1200ELNS1_3gpuE4ELNS1_3repE0EEENS1_30default_config_static_selectorELNS0_4arch9wavefront6targetE1EEEvSI_
                                        ; -- End function
	.section	.AMDGPU.csdata,"",@progbits
; Kernel info:
; codeLenInByte = 0
; NumSgprs: 4
; NumVgprs: 0
; NumAgprs: 0
; TotalNumVgprs: 0
; ScratchSize: 0
; MemoryBound: 0
; FloatMode: 240
; IeeeMode: 1
; LDSByteSize: 0 bytes/workgroup (compile time only)
; SGPRBlocks: 0
; VGPRBlocks: 0
; NumSGPRsForWavesPerEU: 4
; NumVGPRsForWavesPerEU: 1
; AccumOffset: 4
; Occupancy: 8
; WaveLimiterHint : 0
; COMPUTE_PGM_RSRC2:SCRATCH_EN: 0
; COMPUTE_PGM_RSRC2:USER_SGPR: 6
; COMPUTE_PGM_RSRC2:TRAP_HANDLER: 0
; COMPUTE_PGM_RSRC2:TGID_X_EN: 1
; COMPUTE_PGM_RSRC2:TGID_Y_EN: 0
; COMPUTE_PGM_RSRC2:TGID_Z_EN: 0
; COMPUTE_PGM_RSRC2:TIDIG_COMP_CNT: 0
; COMPUTE_PGM_RSRC3_GFX90A:ACCUM_OFFSET: 0
; COMPUTE_PGM_RSRC3_GFX90A:TG_SPLIT: 0
	.section	.text._ZN7rocprim17ROCPRIM_400000_NS6detail17trampoline_kernelINS0_14default_configENS1_22reduce_config_selectorIN6thrust23THRUST_200600_302600_NS5tupleIbffNS6_9null_typeES8_S8_S8_S8_S8_S8_EEEEZNS1_11reduce_implILb1ES3_PS9_SC_S9_12reduce_tupleIifEEE10hipError_tPvRmT1_T2_T3_mT4_P12ihipStream_tbEUlT_E1_NS1_11comp_targetILNS1_3genE9ELNS1_11target_archE1100ELNS1_3gpuE3ELNS1_3repE0EEENS1_30default_config_static_selectorELNS0_4arch9wavefront6targetE1EEEvSI_,"axG",@progbits,_ZN7rocprim17ROCPRIM_400000_NS6detail17trampoline_kernelINS0_14default_configENS1_22reduce_config_selectorIN6thrust23THRUST_200600_302600_NS5tupleIbffNS6_9null_typeES8_S8_S8_S8_S8_S8_EEEEZNS1_11reduce_implILb1ES3_PS9_SC_S9_12reduce_tupleIifEEE10hipError_tPvRmT1_T2_T3_mT4_P12ihipStream_tbEUlT_E1_NS1_11comp_targetILNS1_3genE9ELNS1_11target_archE1100ELNS1_3gpuE3ELNS1_3repE0EEENS1_30default_config_static_selectorELNS0_4arch9wavefront6targetE1EEEvSI_,comdat
	.protected	_ZN7rocprim17ROCPRIM_400000_NS6detail17trampoline_kernelINS0_14default_configENS1_22reduce_config_selectorIN6thrust23THRUST_200600_302600_NS5tupleIbffNS6_9null_typeES8_S8_S8_S8_S8_S8_EEEEZNS1_11reduce_implILb1ES3_PS9_SC_S9_12reduce_tupleIifEEE10hipError_tPvRmT1_T2_T3_mT4_P12ihipStream_tbEUlT_E1_NS1_11comp_targetILNS1_3genE9ELNS1_11target_archE1100ELNS1_3gpuE3ELNS1_3repE0EEENS1_30default_config_static_selectorELNS0_4arch9wavefront6targetE1EEEvSI_ ; -- Begin function _ZN7rocprim17ROCPRIM_400000_NS6detail17trampoline_kernelINS0_14default_configENS1_22reduce_config_selectorIN6thrust23THRUST_200600_302600_NS5tupleIbffNS6_9null_typeES8_S8_S8_S8_S8_S8_EEEEZNS1_11reduce_implILb1ES3_PS9_SC_S9_12reduce_tupleIifEEE10hipError_tPvRmT1_T2_T3_mT4_P12ihipStream_tbEUlT_E1_NS1_11comp_targetILNS1_3genE9ELNS1_11target_archE1100ELNS1_3gpuE3ELNS1_3repE0EEENS1_30default_config_static_selectorELNS0_4arch9wavefront6targetE1EEEvSI_
	.globl	_ZN7rocprim17ROCPRIM_400000_NS6detail17trampoline_kernelINS0_14default_configENS1_22reduce_config_selectorIN6thrust23THRUST_200600_302600_NS5tupleIbffNS6_9null_typeES8_S8_S8_S8_S8_S8_EEEEZNS1_11reduce_implILb1ES3_PS9_SC_S9_12reduce_tupleIifEEE10hipError_tPvRmT1_T2_T3_mT4_P12ihipStream_tbEUlT_E1_NS1_11comp_targetILNS1_3genE9ELNS1_11target_archE1100ELNS1_3gpuE3ELNS1_3repE0EEENS1_30default_config_static_selectorELNS0_4arch9wavefront6targetE1EEEvSI_
	.p2align	8
	.type	_ZN7rocprim17ROCPRIM_400000_NS6detail17trampoline_kernelINS0_14default_configENS1_22reduce_config_selectorIN6thrust23THRUST_200600_302600_NS5tupleIbffNS6_9null_typeES8_S8_S8_S8_S8_S8_EEEEZNS1_11reduce_implILb1ES3_PS9_SC_S9_12reduce_tupleIifEEE10hipError_tPvRmT1_T2_T3_mT4_P12ihipStream_tbEUlT_E1_NS1_11comp_targetILNS1_3genE9ELNS1_11target_archE1100ELNS1_3gpuE3ELNS1_3repE0EEENS1_30default_config_static_selectorELNS0_4arch9wavefront6targetE1EEEvSI_,@function
_ZN7rocprim17ROCPRIM_400000_NS6detail17trampoline_kernelINS0_14default_configENS1_22reduce_config_selectorIN6thrust23THRUST_200600_302600_NS5tupleIbffNS6_9null_typeES8_S8_S8_S8_S8_S8_EEEEZNS1_11reduce_implILb1ES3_PS9_SC_S9_12reduce_tupleIifEEE10hipError_tPvRmT1_T2_T3_mT4_P12ihipStream_tbEUlT_E1_NS1_11comp_targetILNS1_3genE9ELNS1_11target_archE1100ELNS1_3gpuE3ELNS1_3repE0EEENS1_30default_config_static_selectorELNS0_4arch9wavefront6targetE1EEEvSI_: ; @_ZN7rocprim17ROCPRIM_400000_NS6detail17trampoline_kernelINS0_14default_configENS1_22reduce_config_selectorIN6thrust23THRUST_200600_302600_NS5tupleIbffNS6_9null_typeES8_S8_S8_S8_S8_S8_EEEEZNS1_11reduce_implILb1ES3_PS9_SC_S9_12reduce_tupleIifEEE10hipError_tPvRmT1_T2_T3_mT4_P12ihipStream_tbEUlT_E1_NS1_11comp_targetILNS1_3genE9ELNS1_11target_archE1100ELNS1_3gpuE3ELNS1_3repE0EEENS1_30default_config_static_selectorELNS0_4arch9wavefront6targetE1EEEvSI_
; %bb.0:
	.section	.rodata,"a",@progbits
	.p2align	6, 0x0
	.amdhsa_kernel _ZN7rocprim17ROCPRIM_400000_NS6detail17trampoline_kernelINS0_14default_configENS1_22reduce_config_selectorIN6thrust23THRUST_200600_302600_NS5tupleIbffNS6_9null_typeES8_S8_S8_S8_S8_S8_EEEEZNS1_11reduce_implILb1ES3_PS9_SC_S9_12reduce_tupleIifEEE10hipError_tPvRmT1_T2_T3_mT4_P12ihipStream_tbEUlT_E1_NS1_11comp_targetILNS1_3genE9ELNS1_11target_archE1100ELNS1_3gpuE3ELNS1_3repE0EEENS1_30default_config_static_selectorELNS0_4arch9wavefront6targetE1EEEvSI_
		.amdhsa_group_segment_fixed_size 0
		.amdhsa_private_segment_fixed_size 0
		.amdhsa_kernarg_size 48
		.amdhsa_user_sgpr_count 6
		.amdhsa_user_sgpr_private_segment_buffer 1
		.amdhsa_user_sgpr_dispatch_ptr 0
		.amdhsa_user_sgpr_queue_ptr 0
		.amdhsa_user_sgpr_kernarg_segment_ptr 1
		.amdhsa_user_sgpr_dispatch_id 0
		.amdhsa_user_sgpr_flat_scratch_init 0
		.amdhsa_user_sgpr_kernarg_preload_length 0
		.amdhsa_user_sgpr_kernarg_preload_offset 0
		.amdhsa_user_sgpr_private_segment_size 0
		.amdhsa_uses_dynamic_stack 0
		.amdhsa_system_sgpr_private_segment_wavefront_offset 0
		.amdhsa_system_sgpr_workgroup_id_x 1
		.amdhsa_system_sgpr_workgroup_id_y 0
		.amdhsa_system_sgpr_workgroup_id_z 0
		.amdhsa_system_sgpr_workgroup_info 0
		.amdhsa_system_vgpr_workitem_id 0
		.amdhsa_next_free_vgpr 1
		.amdhsa_next_free_sgpr 0
		.amdhsa_accum_offset 4
		.amdhsa_reserve_vcc 0
		.amdhsa_reserve_flat_scratch 0
		.amdhsa_float_round_mode_32 0
		.amdhsa_float_round_mode_16_64 0
		.amdhsa_float_denorm_mode_32 3
		.amdhsa_float_denorm_mode_16_64 3
		.amdhsa_dx10_clamp 1
		.amdhsa_ieee_mode 1
		.amdhsa_fp16_overflow 0
		.amdhsa_tg_split 0
		.amdhsa_exception_fp_ieee_invalid_op 0
		.amdhsa_exception_fp_denorm_src 0
		.amdhsa_exception_fp_ieee_div_zero 0
		.amdhsa_exception_fp_ieee_overflow 0
		.amdhsa_exception_fp_ieee_underflow 0
		.amdhsa_exception_fp_ieee_inexact 0
		.amdhsa_exception_int_div_zero 0
	.end_amdhsa_kernel
	.section	.text._ZN7rocprim17ROCPRIM_400000_NS6detail17trampoline_kernelINS0_14default_configENS1_22reduce_config_selectorIN6thrust23THRUST_200600_302600_NS5tupleIbffNS6_9null_typeES8_S8_S8_S8_S8_S8_EEEEZNS1_11reduce_implILb1ES3_PS9_SC_S9_12reduce_tupleIifEEE10hipError_tPvRmT1_T2_T3_mT4_P12ihipStream_tbEUlT_E1_NS1_11comp_targetILNS1_3genE9ELNS1_11target_archE1100ELNS1_3gpuE3ELNS1_3repE0EEENS1_30default_config_static_selectorELNS0_4arch9wavefront6targetE1EEEvSI_,"axG",@progbits,_ZN7rocprim17ROCPRIM_400000_NS6detail17trampoline_kernelINS0_14default_configENS1_22reduce_config_selectorIN6thrust23THRUST_200600_302600_NS5tupleIbffNS6_9null_typeES8_S8_S8_S8_S8_S8_EEEEZNS1_11reduce_implILb1ES3_PS9_SC_S9_12reduce_tupleIifEEE10hipError_tPvRmT1_T2_T3_mT4_P12ihipStream_tbEUlT_E1_NS1_11comp_targetILNS1_3genE9ELNS1_11target_archE1100ELNS1_3gpuE3ELNS1_3repE0EEENS1_30default_config_static_selectorELNS0_4arch9wavefront6targetE1EEEvSI_,comdat
.Lfunc_end17:
	.size	_ZN7rocprim17ROCPRIM_400000_NS6detail17trampoline_kernelINS0_14default_configENS1_22reduce_config_selectorIN6thrust23THRUST_200600_302600_NS5tupleIbffNS6_9null_typeES8_S8_S8_S8_S8_S8_EEEEZNS1_11reduce_implILb1ES3_PS9_SC_S9_12reduce_tupleIifEEE10hipError_tPvRmT1_T2_T3_mT4_P12ihipStream_tbEUlT_E1_NS1_11comp_targetILNS1_3genE9ELNS1_11target_archE1100ELNS1_3gpuE3ELNS1_3repE0EEENS1_30default_config_static_selectorELNS0_4arch9wavefront6targetE1EEEvSI_, .Lfunc_end17-_ZN7rocprim17ROCPRIM_400000_NS6detail17trampoline_kernelINS0_14default_configENS1_22reduce_config_selectorIN6thrust23THRUST_200600_302600_NS5tupleIbffNS6_9null_typeES8_S8_S8_S8_S8_S8_EEEEZNS1_11reduce_implILb1ES3_PS9_SC_S9_12reduce_tupleIifEEE10hipError_tPvRmT1_T2_T3_mT4_P12ihipStream_tbEUlT_E1_NS1_11comp_targetILNS1_3genE9ELNS1_11target_archE1100ELNS1_3gpuE3ELNS1_3repE0EEENS1_30default_config_static_selectorELNS0_4arch9wavefront6targetE1EEEvSI_
                                        ; -- End function
	.section	.AMDGPU.csdata,"",@progbits
; Kernel info:
; codeLenInByte = 0
; NumSgprs: 4
; NumVgprs: 0
; NumAgprs: 0
; TotalNumVgprs: 0
; ScratchSize: 0
; MemoryBound: 0
; FloatMode: 240
; IeeeMode: 1
; LDSByteSize: 0 bytes/workgroup (compile time only)
; SGPRBlocks: 0
; VGPRBlocks: 0
; NumSGPRsForWavesPerEU: 4
; NumVGPRsForWavesPerEU: 1
; AccumOffset: 4
; Occupancy: 8
; WaveLimiterHint : 0
; COMPUTE_PGM_RSRC2:SCRATCH_EN: 0
; COMPUTE_PGM_RSRC2:USER_SGPR: 6
; COMPUTE_PGM_RSRC2:TRAP_HANDLER: 0
; COMPUTE_PGM_RSRC2:TGID_X_EN: 1
; COMPUTE_PGM_RSRC2:TGID_Y_EN: 0
; COMPUTE_PGM_RSRC2:TGID_Z_EN: 0
; COMPUTE_PGM_RSRC2:TIDIG_COMP_CNT: 0
; COMPUTE_PGM_RSRC3_GFX90A:ACCUM_OFFSET: 0
; COMPUTE_PGM_RSRC3_GFX90A:TG_SPLIT: 0
	.section	.text._ZN7rocprim17ROCPRIM_400000_NS6detail17trampoline_kernelINS0_14default_configENS1_22reduce_config_selectorIN6thrust23THRUST_200600_302600_NS5tupleIbffNS6_9null_typeES8_S8_S8_S8_S8_S8_EEEEZNS1_11reduce_implILb1ES3_PS9_SC_S9_12reduce_tupleIifEEE10hipError_tPvRmT1_T2_T3_mT4_P12ihipStream_tbEUlT_E1_NS1_11comp_targetILNS1_3genE8ELNS1_11target_archE1030ELNS1_3gpuE2ELNS1_3repE0EEENS1_30default_config_static_selectorELNS0_4arch9wavefront6targetE1EEEvSI_,"axG",@progbits,_ZN7rocprim17ROCPRIM_400000_NS6detail17trampoline_kernelINS0_14default_configENS1_22reduce_config_selectorIN6thrust23THRUST_200600_302600_NS5tupleIbffNS6_9null_typeES8_S8_S8_S8_S8_S8_EEEEZNS1_11reduce_implILb1ES3_PS9_SC_S9_12reduce_tupleIifEEE10hipError_tPvRmT1_T2_T3_mT4_P12ihipStream_tbEUlT_E1_NS1_11comp_targetILNS1_3genE8ELNS1_11target_archE1030ELNS1_3gpuE2ELNS1_3repE0EEENS1_30default_config_static_selectorELNS0_4arch9wavefront6targetE1EEEvSI_,comdat
	.protected	_ZN7rocprim17ROCPRIM_400000_NS6detail17trampoline_kernelINS0_14default_configENS1_22reduce_config_selectorIN6thrust23THRUST_200600_302600_NS5tupleIbffNS6_9null_typeES8_S8_S8_S8_S8_S8_EEEEZNS1_11reduce_implILb1ES3_PS9_SC_S9_12reduce_tupleIifEEE10hipError_tPvRmT1_T2_T3_mT4_P12ihipStream_tbEUlT_E1_NS1_11comp_targetILNS1_3genE8ELNS1_11target_archE1030ELNS1_3gpuE2ELNS1_3repE0EEENS1_30default_config_static_selectorELNS0_4arch9wavefront6targetE1EEEvSI_ ; -- Begin function _ZN7rocprim17ROCPRIM_400000_NS6detail17trampoline_kernelINS0_14default_configENS1_22reduce_config_selectorIN6thrust23THRUST_200600_302600_NS5tupleIbffNS6_9null_typeES8_S8_S8_S8_S8_S8_EEEEZNS1_11reduce_implILb1ES3_PS9_SC_S9_12reduce_tupleIifEEE10hipError_tPvRmT1_T2_T3_mT4_P12ihipStream_tbEUlT_E1_NS1_11comp_targetILNS1_3genE8ELNS1_11target_archE1030ELNS1_3gpuE2ELNS1_3repE0EEENS1_30default_config_static_selectorELNS0_4arch9wavefront6targetE1EEEvSI_
	.globl	_ZN7rocprim17ROCPRIM_400000_NS6detail17trampoline_kernelINS0_14default_configENS1_22reduce_config_selectorIN6thrust23THRUST_200600_302600_NS5tupleIbffNS6_9null_typeES8_S8_S8_S8_S8_S8_EEEEZNS1_11reduce_implILb1ES3_PS9_SC_S9_12reduce_tupleIifEEE10hipError_tPvRmT1_T2_T3_mT4_P12ihipStream_tbEUlT_E1_NS1_11comp_targetILNS1_3genE8ELNS1_11target_archE1030ELNS1_3gpuE2ELNS1_3repE0EEENS1_30default_config_static_selectorELNS0_4arch9wavefront6targetE1EEEvSI_
	.p2align	8
	.type	_ZN7rocprim17ROCPRIM_400000_NS6detail17trampoline_kernelINS0_14default_configENS1_22reduce_config_selectorIN6thrust23THRUST_200600_302600_NS5tupleIbffNS6_9null_typeES8_S8_S8_S8_S8_S8_EEEEZNS1_11reduce_implILb1ES3_PS9_SC_S9_12reduce_tupleIifEEE10hipError_tPvRmT1_T2_T3_mT4_P12ihipStream_tbEUlT_E1_NS1_11comp_targetILNS1_3genE8ELNS1_11target_archE1030ELNS1_3gpuE2ELNS1_3repE0EEENS1_30default_config_static_selectorELNS0_4arch9wavefront6targetE1EEEvSI_,@function
_ZN7rocprim17ROCPRIM_400000_NS6detail17trampoline_kernelINS0_14default_configENS1_22reduce_config_selectorIN6thrust23THRUST_200600_302600_NS5tupleIbffNS6_9null_typeES8_S8_S8_S8_S8_S8_EEEEZNS1_11reduce_implILb1ES3_PS9_SC_S9_12reduce_tupleIifEEE10hipError_tPvRmT1_T2_T3_mT4_P12ihipStream_tbEUlT_E1_NS1_11comp_targetILNS1_3genE8ELNS1_11target_archE1030ELNS1_3gpuE2ELNS1_3repE0EEENS1_30default_config_static_selectorELNS0_4arch9wavefront6targetE1EEEvSI_: ; @_ZN7rocprim17ROCPRIM_400000_NS6detail17trampoline_kernelINS0_14default_configENS1_22reduce_config_selectorIN6thrust23THRUST_200600_302600_NS5tupleIbffNS6_9null_typeES8_S8_S8_S8_S8_S8_EEEEZNS1_11reduce_implILb1ES3_PS9_SC_S9_12reduce_tupleIifEEE10hipError_tPvRmT1_T2_T3_mT4_P12ihipStream_tbEUlT_E1_NS1_11comp_targetILNS1_3genE8ELNS1_11target_archE1030ELNS1_3gpuE2ELNS1_3repE0EEENS1_30default_config_static_selectorELNS0_4arch9wavefront6targetE1EEEvSI_
; %bb.0:
	.section	.rodata,"a",@progbits
	.p2align	6, 0x0
	.amdhsa_kernel _ZN7rocprim17ROCPRIM_400000_NS6detail17trampoline_kernelINS0_14default_configENS1_22reduce_config_selectorIN6thrust23THRUST_200600_302600_NS5tupleIbffNS6_9null_typeES8_S8_S8_S8_S8_S8_EEEEZNS1_11reduce_implILb1ES3_PS9_SC_S9_12reduce_tupleIifEEE10hipError_tPvRmT1_T2_T3_mT4_P12ihipStream_tbEUlT_E1_NS1_11comp_targetILNS1_3genE8ELNS1_11target_archE1030ELNS1_3gpuE2ELNS1_3repE0EEENS1_30default_config_static_selectorELNS0_4arch9wavefront6targetE1EEEvSI_
		.amdhsa_group_segment_fixed_size 0
		.amdhsa_private_segment_fixed_size 0
		.amdhsa_kernarg_size 48
		.amdhsa_user_sgpr_count 6
		.amdhsa_user_sgpr_private_segment_buffer 1
		.amdhsa_user_sgpr_dispatch_ptr 0
		.amdhsa_user_sgpr_queue_ptr 0
		.amdhsa_user_sgpr_kernarg_segment_ptr 1
		.amdhsa_user_sgpr_dispatch_id 0
		.amdhsa_user_sgpr_flat_scratch_init 0
		.amdhsa_user_sgpr_kernarg_preload_length 0
		.amdhsa_user_sgpr_kernarg_preload_offset 0
		.amdhsa_user_sgpr_private_segment_size 0
		.amdhsa_uses_dynamic_stack 0
		.amdhsa_system_sgpr_private_segment_wavefront_offset 0
		.amdhsa_system_sgpr_workgroup_id_x 1
		.amdhsa_system_sgpr_workgroup_id_y 0
		.amdhsa_system_sgpr_workgroup_id_z 0
		.amdhsa_system_sgpr_workgroup_info 0
		.amdhsa_system_vgpr_workitem_id 0
		.amdhsa_next_free_vgpr 1
		.amdhsa_next_free_sgpr 0
		.amdhsa_accum_offset 4
		.amdhsa_reserve_vcc 0
		.amdhsa_reserve_flat_scratch 0
		.amdhsa_float_round_mode_32 0
		.amdhsa_float_round_mode_16_64 0
		.amdhsa_float_denorm_mode_32 3
		.amdhsa_float_denorm_mode_16_64 3
		.amdhsa_dx10_clamp 1
		.amdhsa_ieee_mode 1
		.amdhsa_fp16_overflow 0
		.amdhsa_tg_split 0
		.amdhsa_exception_fp_ieee_invalid_op 0
		.amdhsa_exception_fp_denorm_src 0
		.amdhsa_exception_fp_ieee_div_zero 0
		.amdhsa_exception_fp_ieee_overflow 0
		.amdhsa_exception_fp_ieee_underflow 0
		.amdhsa_exception_fp_ieee_inexact 0
		.amdhsa_exception_int_div_zero 0
	.end_amdhsa_kernel
	.section	.text._ZN7rocprim17ROCPRIM_400000_NS6detail17trampoline_kernelINS0_14default_configENS1_22reduce_config_selectorIN6thrust23THRUST_200600_302600_NS5tupleIbffNS6_9null_typeES8_S8_S8_S8_S8_S8_EEEEZNS1_11reduce_implILb1ES3_PS9_SC_S9_12reduce_tupleIifEEE10hipError_tPvRmT1_T2_T3_mT4_P12ihipStream_tbEUlT_E1_NS1_11comp_targetILNS1_3genE8ELNS1_11target_archE1030ELNS1_3gpuE2ELNS1_3repE0EEENS1_30default_config_static_selectorELNS0_4arch9wavefront6targetE1EEEvSI_,"axG",@progbits,_ZN7rocprim17ROCPRIM_400000_NS6detail17trampoline_kernelINS0_14default_configENS1_22reduce_config_selectorIN6thrust23THRUST_200600_302600_NS5tupleIbffNS6_9null_typeES8_S8_S8_S8_S8_S8_EEEEZNS1_11reduce_implILb1ES3_PS9_SC_S9_12reduce_tupleIifEEE10hipError_tPvRmT1_T2_T3_mT4_P12ihipStream_tbEUlT_E1_NS1_11comp_targetILNS1_3genE8ELNS1_11target_archE1030ELNS1_3gpuE2ELNS1_3repE0EEENS1_30default_config_static_selectorELNS0_4arch9wavefront6targetE1EEEvSI_,comdat
.Lfunc_end18:
	.size	_ZN7rocprim17ROCPRIM_400000_NS6detail17trampoline_kernelINS0_14default_configENS1_22reduce_config_selectorIN6thrust23THRUST_200600_302600_NS5tupleIbffNS6_9null_typeES8_S8_S8_S8_S8_S8_EEEEZNS1_11reduce_implILb1ES3_PS9_SC_S9_12reduce_tupleIifEEE10hipError_tPvRmT1_T2_T3_mT4_P12ihipStream_tbEUlT_E1_NS1_11comp_targetILNS1_3genE8ELNS1_11target_archE1030ELNS1_3gpuE2ELNS1_3repE0EEENS1_30default_config_static_selectorELNS0_4arch9wavefront6targetE1EEEvSI_, .Lfunc_end18-_ZN7rocprim17ROCPRIM_400000_NS6detail17trampoline_kernelINS0_14default_configENS1_22reduce_config_selectorIN6thrust23THRUST_200600_302600_NS5tupleIbffNS6_9null_typeES8_S8_S8_S8_S8_S8_EEEEZNS1_11reduce_implILb1ES3_PS9_SC_S9_12reduce_tupleIifEEE10hipError_tPvRmT1_T2_T3_mT4_P12ihipStream_tbEUlT_E1_NS1_11comp_targetILNS1_3genE8ELNS1_11target_archE1030ELNS1_3gpuE2ELNS1_3repE0EEENS1_30default_config_static_selectorELNS0_4arch9wavefront6targetE1EEEvSI_
                                        ; -- End function
	.section	.AMDGPU.csdata,"",@progbits
; Kernel info:
; codeLenInByte = 0
; NumSgprs: 4
; NumVgprs: 0
; NumAgprs: 0
; TotalNumVgprs: 0
; ScratchSize: 0
; MemoryBound: 0
; FloatMode: 240
; IeeeMode: 1
; LDSByteSize: 0 bytes/workgroup (compile time only)
; SGPRBlocks: 0
; VGPRBlocks: 0
; NumSGPRsForWavesPerEU: 4
; NumVGPRsForWavesPerEU: 1
; AccumOffset: 4
; Occupancy: 8
; WaveLimiterHint : 0
; COMPUTE_PGM_RSRC2:SCRATCH_EN: 0
; COMPUTE_PGM_RSRC2:USER_SGPR: 6
; COMPUTE_PGM_RSRC2:TRAP_HANDLER: 0
; COMPUTE_PGM_RSRC2:TGID_X_EN: 1
; COMPUTE_PGM_RSRC2:TGID_Y_EN: 0
; COMPUTE_PGM_RSRC2:TGID_Z_EN: 0
; COMPUTE_PGM_RSRC2:TIDIG_COMP_CNT: 0
; COMPUTE_PGM_RSRC3_GFX90A:ACCUM_OFFSET: 0
; COMPUTE_PGM_RSRC3_GFX90A:TG_SPLIT: 0
	.section	.text._ZN7rocprim17ROCPRIM_400000_NS6detail17trampoline_kernelINS0_14default_configENS1_22reduce_config_selectorIN6thrust23THRUST_200600_302600_NS5tupleIbffNS6_9null_typeES8_S8_S8_S8_S8_S8_EEEEZNS1_11reduce_implILb1ES3_NS6_11hip_rocprim26transform_input_iterator_tIS9_NS6_12zip_iteratorINS7_INS6_17counting_iteratorIiNS6_11use_defaultESG_SG_EENS6_6detail15normal_iteratorINS6_10device_ptrIfEEEES8_S8_S8_S8_S8_S8_S8_S8_EEEE15transform_tupleIifEEEPS9_S9_12reduce_tupleIifEEE10hipError_tPvRmT1_T2_T3_mT4_P12ihipStream_tbEUlT_E0_NS1_11comp_targetILNS1_3genE0ELNS1_11target_archE4294967295ELNS1_3gpuE0ELNS1_3repE0EEENS1_30default_config_static_selectorELNS0_4arch9wavefront6targetE1EEEvSY_,"axG",@progbits,_ZN7rocprim17ROCPRIM_400000_NS6detail17trampoline_kernelINS0_14default_configENS1_22reduce_config_selectorIN6thrust23THRUST_200600_302600_NS5tupleIbffNS6_9null_typeES8_S8_S8_S8_S8_S8_EEEEZNS1_11reduce_implILb1ES3_NS6_11hip_rocprim26transform_input_iterator_tIS9_NS6_12zip_iteratorINS7_INS6_17counting_iteratorIiNS6_11use_defaultESG_SG_EENS6_6detail15normal_iteratorINS6_10device_ptrIfEEEES8_S8_S8_S8_S8_S8_S8_S8_EEEE15transform_tupleIifEEEPS9_S9_12reduce_tupleIifEEE10hipError_tPvRmT1_T2_T3_mT4_P12ihipStream_tbEUlT_E0_NS1_11comp_targetILNS1_3genE0ELNS1_11target_archE4294967295ELNS1_3gpuE0ELNS1_3repE0EEENS1_30default_config_static_selectorELNS0_4arch9wavefront6targetE1EEEvSY_,comdat
	.protected	_ZN7rocprim17ROCPRIM_400000_NS6detail17trampoline_kernelINS0_14default_configENS1_22reduce_config_selectorIN6thrust23THRUST_200600_302600_NS5tupleIbffNS6_9null_typeES8_S8_S8_S8_S8_S8_EEEEZNS1_11reduce_implILb1ES3_NS6_11hip_rocprim26transform_input_iterator_tIS9_NS6_12zip_iteratorINS7_INS6_17counting_iteratorIiNS6_11use_defaultESG_SG_EENS6_6detail15normal_iteratorINS6_10device_ptrIfEEEES8_S8_S8_S8_S8_S8_S8_S8_EEEE15transform_tupleIifEEEPS9_S9_12reduce_tupleIifEEE10hipError_tPvRmT1_T2_T3_mT4_P12ihipStream_tbEUlT_E0_NS1_11comp_targetILNS1_3genE0ELNS1_11target_archE4294967295ELNS1_3gpuE0ELNS1_3repE0EEENS1_30default_config_static_selectorELNS0_4arch9wavefront6targetE1EEEvSY_ ; -- Begin function _ZN7rocprim17ROCPRIM_400000_NS6detail17trampoline_kernelINS0_14default_configENS1_22reduce_config_selectorIN6thrust23THRUST_200600_302600_NS5tupleIbffNS6_9null_typeES8_S8_S8_S8_S8_S8_EEEEZNS1_11reduce_implILb1ES3_NS6_11hip_rocprim26transform_input_iterator_tIS9_NS6_12zip_iteratorINS7_INS6_17counting_iteratorIiNS6_11use_defaultESG_SG_EENS6_6detail15normal_iteratorINS6_10device_ptrIfEEEES8_S8_S8_S8_S8_S8_S8_S8_EEEE15transform_tupleIifEEEPS9_S9_12reduce_tupleIifEEE10hipError_tPvRmT1_T2_T3_mT4_P12ihipStream_tbEUlT_E0_NS1_11comp_targetILNS1_3genE0ELNS1_11target_archE4294967295ELNS1_3gpuE0ELNS1_3repE0EEENS1_30default_config_static_selectorELNS0_4arch9wavefront6targetE1EEEvSY_
	.globl	_ZN7rocprim17ROCPRIM_400000_NS6detail17trampoline_kernelINS0_14default_configENS1_22reduce_config_selectorIN6thrust23THRUST_200600_302600_NS5tupleIbffNS6_9null_typeES8_S8_S8_S8_S8_S8_EEEEZNS1_11reduce_implILb1ES3_NS6_11hip_rocprim26transform_input_iterator_tIS9_NS6_12zip_iteratorINS7_INS6_17counting_iteratorIiNS6_11use_defaultESG_SG_EENS6_6detail15normal_iteratorINS6_10device_ptrIfEEEES8_S8_S8_S8_S8_S8_S8_S8_EEEE15transform_tupleIifEEEPS9_S9_12reduce_tupleIifEEE10hipError_tPvRmT1_T2_T3_mT4_P12ihipStream_tbEUlT_E0_NS1_11comp_targetILNS1_3genE0ELNS1_11target_archE4294967295ELNS1_3gpuE0ELNS1_3repE0EEENS1_30default_config_static_selectorELNS0_4arch9wavefront6targetE1EEEvSY_
	.p2align	8
	.type	_ZN7rocprim17ROCPRIM_400000_NS6detail17trampoline_kernelINS0_14default_configENS1_22reduce_config_selectorIN6thrust23THRUST_200600_302600_NS5tupleIbffNS6_9null_typeES8_S8_S8_S8_S8_S8_EEEEZNS1_11reduce_implILb1ES3_NS6_11hip_rocprim26transform_input_iterator_tIS9_NS6_12zip_iteratorINS7_INS6_17counting_iteratorIiNS6_11use_defaultESG_SG_EENS6_6detail15normal_iteratorINS6_10device_ptrIfEEEES8_S8_S8_S8_S8_S8_S8_S8_EEEE15transform_tupleIifEEEPS9_S9_12reduce_tupleIifEEE10hipError_tPvRmT1_T2_T3_mT4_P12ihipStream_tbEUlT_E0_NS1_11comp_targetILNS1_3genE0ELNS1_11target_archE4294967295ELNS1_3gpuE0ELNS1_3repE0EEENS1_30default_config_static_selectorELNS0_4arch9wavefront6targetE1EEEvSY_,@function
_ZN7rocprim17ROCPRIM_400000_NS6detail17trampoline_kernelINS0_14default_configENS1_22reduce_config_selectorIN6thrust23THRUST_200600_302600_NS5tupleIbffNS6_9null_typeES8_S8_S8_S8_S8_S8_EEEEZNS1_11reduce_implILb1ES3_NS6_11hip_rocprim26transform_input_iterator_tIS9_NS6_12zip_iteratorINS7_INS6_17counting_iteratorIiNS6_11use_defaultESG_SG_EENS6_6detail15normal_iteratorINS6_10device_ptrIfEEEES8_S8_S8_S8_S8_S8_S8_S8_EEEE15transform_tupleIifEEEPS9_S9_12reduce_tupleIifEEE10hipError_tPvRmT1_T2_T3_mT4_P12ihipStream_tbEUlT_E0_NS1_11comp_targetILNS1_3genE0ELNS1_11target_archE4294967295ELNS1_3gpuE0ELNS1_3repE0EEENS1_30default_config_static_selectorELNS0_4arch9wavefront6targetE1EEEvSY_: ; @_ZN7rocprim17ROCPRIM_400000_NS6detail17trampoline_kernelINS0_14default_configENS1_22reduce_config_selectorIN6thrust23THRUST_200600_302600_NS5tupleIbffNS6_9null_typeES8_S8_S8_S8_S8_S8_EEEEZNS1_11reduce_implILb1ES3_NS6_11hip_rocprim26transform_input_iterator_tIS9_NS6_12zip_iteratorINS7_INS6_17counting_iteratorIiNS6_11use_defaultESG_SG_EENS6_6detail15normal_iteratorINS6_10device_ptrIfEEEES8_S8_S8_S8_S8_S8_S8_S8_EEEE15transform_tupleIifEEEPS9_S9_12reduce_tupleIifEEE10hipError_tPvRmT1_T2_T3_mT4_P12ihipStream_tbEUlT_E0_NS1_11comp_targetILNS1_3genE0ELNS1_11target_archE4294967295ELNS1_3gpuE0ELNS1_3repE0EEENS1_30default_config_static_selectorELNS0_4arch9wavefront6targetE1EEEvSY_
; %bb.0:
	.section	.rodata,"a",@progbits
	.p2align	6, 0x0
	.amdhsa_kernel _ZN7rocprim17ROCPRIM_400000_NS6detail17trampoline_kernelINS0_14default_configENS1_22reduce_config_selectorIN6thrust23THRUST_200600_302600_NS5tupleIbffNS6_9null_typeES8_S8_S8_S8_S8_S8_EEEEZNS1_11reduce_implILb1ES3_NS6_11hip_rocprim26transform_input_iterator_tIS9_NS6_12zip_iteratorINS7_INS6_17counting_iteratorIiNS6_11use_defaultESG_SG_EENS6_6detail15normal_iteratorINS6_10device_ptrIfEEEES8_S8_S8_S8_S8_S8_S8_S8_EEEE15transform_tupleIifEEEPS9_S9_12reduce_tupleIifEEE10hipError_tPvRmT1_T2_T3_mT4_P12ihipStream_tbEUlT_E0_NS1_11comp_targetILNS1_3genE0ELNS1_11target_archE4294967295ELNS1_3gpuE0ELNS1_3repE0EEENS1_30default_config_static_selectorELNS0_4arch9wavefront6targetE1EEEvSY_
		.amdhsa_group_segment_fixed_size 0
		.amdhsa_private_segment_fixed_size 0
		.amdhsa_kernarg_size 80
		.amdhsa_user_sgpr_count 6
		.amdhsa_user_sgpr_private_segment_buffer 1
		.amdhsa_user_sgpr_dispatch_ptr 0
		.amdhsa_user_sgpr_queue_ptr 0
		.amdhsa_user_sgpr_kernarg_segment_ptr 1
		.amdhsa_user_sgpr_dispatch_id 0
		.amdhsa_user_sgpr_flat_scratch_init 0
		.amdhsa_user_sgpr_kernarg_preload_length 0
		.amdhsa_user_sgpr_kernarg_preload_offset 0
		.amdhsa_user_sgpr_private_segment_size 0
		.amdhsa_uses_dynamic_stack 0
		.amdhsa_system_sgpr_private_segment_wavefront_offset 0
		.amdhsa_system_sgpr_workgroup_id_x 1
		.amdhsa_system_sgpr_workgroup_id_y 0
		.amdhsa_system_sgpr_workgroup_id_z 0
		.amdhsa_system_sgpr_workgroup_info 0
		.amdhsa_system_vgpr_workitem_id 0
		.amdhsa_next_free_vgpr 1
		.amdhsa_next_free_sgpr 0
		.amdhsa_accum_offset 4
		.amdhsa_reserve_vcc 0
		.amdhsa_reserve_flat_scratch 0
		.amdhsa_float_round_mode_32 0
		.amdhsa_float_round_mode_16_64 0
		.amdhsa_float_denorm_mode_32 3
		.amdhsa_float_denorm_mode_16_64 3
		.amdhsa_dx10_clamp 1
		.amdhsa_ieee_mode 1
		.amdhsa_fp16_overflow 0
		.amdhsa_tg_split 0
		.amdhsa_exception_fp_ieee_invalid_op 0
		.amdhsa_exception_fp_denorm_src 0
		.amdhsa_exception_fp_ieee_div_zero 0
		.amdhsa_exception_fp_ieee_overflow 0
		.amdhsa_exception_fp_ieee_underflow 0
		.amdhsa_exception_fp_ieee_inexact 0
		.amdhsa_exception_int_div_zero 0
	.end_amdhsa_kernel
	.section	.text._ZN7rocprim17ROCPRIM_400000_NS6detail17trampoline_kernelINS0_14default_configENS1_22reduce_config_selectorIN6thrust23THRUST_200600_302600_NS5tupleIbffNS6_9null_typeES8_S8_S8_S8_S8_S8_EEEEZNS1_11reduce_implILb1ES3_NS6_11hip_rocprim26transform_input_iterator_tIS9_NS6_12zip_iteratorINS7_INS6_17counting_iteratorIiNS6_11use_defaultESG_SG_EENS6_6detail15normal_iteratorINS6_10device_ptrIfEEEES8_S8_S8_S8_S8_S8_S8_S8_EEEE15transform_tupleIifEEEPS9_S9_12reduce_tupleIifEEE10hipError_tPvRmT1_T2_T3_mT4_P12ihipStream_tbEUlT_E0_NS1_11comp_targetILNS1_3genE0ELNS1_11target_archE4294967295ELNS1_3gpuE0ELNS1_3repE0EEENS1_30default_config_static_selectorELNS0_4arch9wavefront6targetE1EEEvSY_,"axG",@progbits,_ZN7rocprim17ROCPRIM_400000_NS6detail17trampoline_kernelINS0_14default_configENS1_22reduce_config_selectorIN6thrust23THRUST_200600_302600_NS5tupleIbffNS6_9null_typeES8_S8_S8_S8_S8_S8_EEEEZNS1_11reduce_implILb1ES3_NS6_11hip_rocprim26transform_input_iterator_tIS9_NS6_12zip_iteratorINS7_INS6_17counting_iteratorIiNS6_11use_defaultESG_SG_EENS6_6detail15normal_iteratorINS6_10device_ptrIfEEEES8_S8_S8_S8_S8_S8_S8_S8_EEEE15transform_tupleIifEEEPS9_S9_12reduce_tupleIifEEE10hipError_tPvRmT1_T2_T3_mT4_P12ihipStream_tbEUlT_E0_NS1_11comp_targetILNS1_3genE0ELNS1_11target_archE4294967295ELNS1_3gpuE0ELNS1_3repE0EEENS1_30default_config_static_selectorELNS0_4arch9wavefront6targetE1EEEvSY_,comdat
.Lfunc_end19:
	.size	_ZN7rocprim17ROCPRIM_400000_NS6detail17trampoline_kernelINS0_14default_configENS1_22reduce_config_selectorIN6thrust23THRUST_200600_302600_NS5tupleIbffNS6_9null_typeES8_S8_S8_S8_S8_S8_EEEEZNS1_11reduce_implILb1ES3_NS6_11hip_rocprim26transform_input_iterator_tIS9_NS6_12zip_iteratorINS7_INS6_17counting_iteratorIiNS6_11use_defaultESG_SG_EENS6_6detail15normal_iteratorINS6_10device_ptrIfEEEES8_S8_S8_S8_S8_S8_S8_S8_EEEE15transform_tupleIifEEEPS9_S9_12reduce_tupleIifEEE10hipError_tPvRmT1_T2_T3_mT4_P12ihipStream_tbEUlT_E0_NS1_11comp_targetILNS1_3genE0ELNS1_11target_archE4294967295ELNS1_3gpuE0ELNS1_3repE0EEENS1_30default_config_static_selectorELNS0_4arch9wavefront6targetE1EEEvSY_, .Lfunc_end19-_ZN7rocprim17ROCPRIM_400000_NS6detail17trampoline_kernelINS0_14default_configENS1_22reduce_config_selectorIN6thrust23THRUST_200600_302600_NS5tupleIbffNS6_9null_typeES8_S8_S8_S8_S8_S8_EEEEZNS1_11reduce_implILb1ES3_NS6_11hip_rocprim26transform_input_iterator_tIS9_NS6_12zip_iteratorINS7_INS6_17counting_iteratorIiNS6_11use_defaultESG_SG_EENS6_6detail15normal_iteratorINS6_10device_ptrIfEEEES8_S8_S8_S8_S8_S8_S8_S8_EEEE15transform_tupleIifEEEPS9_S9_12reduce_tupleIifEEE10hipError_tPvRmT1_T2_T3_mT4_P12ihipStream_tbEUlT_E0_NS1_11comp_targetILNS1_3genE0ELNS1_11target_archE4294967295ELNS1_3gpuE0ELNS1_3repE0EEENS1_30default_config_static_selectorELNS0_4arch9wavefront6targetE1EEEvSY_
                                        ; -- End function
	.section	.AMDGPU.csdata,"",@progbits
; Kernel info:
; codeLenInByte = 0
; NumSgprs: 4
; NumVgprs: 0
; NumAgprs: 0
; TotalNumVgprs: 0
; ScratchSize: 0
; MemoryBound: 0
; FloatMode: 240
; IeeeMode: 1
; LDSByteSize: 0 bytes/workgroup (compile time only)
; SGPRBlocks: 0
; VGPRBlocks: 0
; NumSGPRsForWavesPerEU: 4
; NumVGPRsForWavesPerEU: 1
; AccumOffset: 4
; Occupancy: 8
; WaveLimiterHint : 0
; COMPUTE_PGM_RSRC2:SCRATCH_EN: 0
; COMPUTE_PGM_RSRC2:USER_SGPR: 6
; COMPUTE_PGM_RSRC2:TRAP_HANDLER: 0
; COMPUTE_PGM_RSRC2:TGID_X_EN: 1
; COMPUTE_PGM_RSRC2:TGID_Y_EN: 0
; COMPUTE_PGM_RSRC2:TGID_Z_EN: 0
; COMPUTE_PGM_RSRC2:TIDIG_COMP_CNT: 0
; COMPUTE_PGM_RSRC3_GFX90A:ACCUM_OFFSET: 0
; COMPUTE_PGM_RSRC3_GFX90A:TG_SPLIT: 0
	.section	.text._ZN7rocprim17ROCPRIM_400000_NS6detail17trampoline_kernelINS0_14default_configENS1_22reduce_config_selectorIN6thrust23THRUST_200600_302600_NS5tupleIbffNS6_9null_typeES8_S8_S8_S8_S8_S8_EEEEZNS1_11reduce_implILb1ES3_NS6_11hip_rocprim26transform_input_iterator_tIS9_NS6_12zip_iteratorINS7_INS6_17counting_iteratorIiNS6_11use_defaultESG_SG_EENS6_6detail15normal_iteratorINS6_10device_ptrIfEEEES8_S8_S8_S8_S8_S8_S8_S8_EEEE15transform_tupleIifEEEPS9_S9_12reduce_tupleIifEEE10hipError_tPvRmT1_T2_T3_mT4_P12ihipStream_tbEUlT_E0_NS1_11comp_targetILNS1_3genE5ELNS1_11target_archE942ELNS1_3gpuE9ELNS1_3repE0EEENS1_30default_config_static_selectorELNS0_4arch9wavefront6targetE1EEEvSY_,"axG",@progbits,_ZN7rocprim17ROCPRIM_400000_NS6detail17trampoline_kernelINS0_14default_configENS1_22reduce_config_selectorIN6thrust23THRUST_200600_302600_NS5tupleIbffNS6_9null_typeES8_S8_S8_S8_S8_S8_EEEEZNS1_11reduce_implILb1ES3_NS6_11hip_rocprim26transform_input_iterator_tIS9_NS6_12zip_iteratorINS7_INS6_17counting_iteratorIiNS6_11use_defaultESG_SG_EENS6_6detail15normal_iteratorINS6_10device_ptrIfEEEES8_S8_S8_S8_S8_S8_S8_S8_EEEE15transform_tupleIifEEEPS9_S9_12reduce_tupleIifEEE10hipError_tPvRmT1_T2_T3_mT4_P12ihipStream_tbEUlT_E0_NS1_11comp_targetILNS1_3genE5ELNS1_11target_archE942ELNS1_3gpuE9ELNS1_3repE0EEENS1_30default_config_static_selectorELNS0_4arch9wavefront6targetE1EEEvSY_,comdat
	.protected	_ZN7rocprim17ROCPRIM_400000_NS6detail17trampoline_kernelINS0_14default_configENS1_22reduce_config_selectorIN6thrust23THRUST_200600_302600_NS5tupleIbffNS6_9null_typeES8_S8_S8_S8_S8_S8_EEEEZNS1_11reduce_implILb1ES3_NS6_11hip_rocprim26transform_input_iterator_tIS9_NS6_12zip_iteratorINS7_INS6_17counting_iteratorIiNS6_11use_defaultESG_SG_EENS6_6detail15normal_iteratorINS6_10device_ptrIfEEEES8_S8_S8_S8_S8_S8_S8_S8_EEEE15transform_tupleIifEEEPS9_S9_12reduce_tupleIifEEE10hipError_tPvRmT1_T2_T3_mT4_P12ihipStream_tbEUlT_E0_NS1_11comp_targetILNS1_3genE5ELNS1_11target_archE942ELNS1_3gpuE9ELNS1_3repE0EEENS1_30default_config_static_selectorELNS0_4arch9wavefront6targetE1EEEvSY_ ; -- Begin function _ZN7rocprim17ROCPRIM_400000_NS6detail17trampoline_kernelINS0_14default_configENS1_22reduce_config_selectorIN6thrust23THRUST_200600_302600_NS5tupleIbffNS6_9null_typeES8_S8_S8_S8_S8_S8_EEEEZNS1_11reduce_implILb1ES3_NS6_11hip_rocprim26transform_input_iterator_tIS9_NS6_12zip_iteratorINS7_INS6_17counting_iteratorIiNS6_11use_defaultESG_SG_EENS6_6detail15normal_iteratorINS6_10device_ptrIfEEEES8_S8_S8_S8_S8_S8_S8_S8_EEEE15transform_tupleIifEEEPS9_S9_12reduce_tupleIifEEE10hipError_tPvRmT1_T2_T3_mT4_P12ihipStream_tbEUlT_E0_NS1_11comp_targetILNS1_3genE5ELNS1_11target_archE942ELNS1_3gpuE9ELNS1_3repE0EEENS1_30default_config_static_selectorELNS0_4arch9wavefront6targetE1EEEvSY_
	.globl	_ZN7rocprim17ROCPRIM_400000_NS6detail17trampoline_kernelINS0_14default_configENS1_22reduce_config_selectorIN6thrust23THRUST_200600_302600_NS5tupleIbffNS6_9null_typeES8_S8_S8_S8_S8_S8_EEEEZNS1_11reduce_implILb1ES3_NS6_11hip_rocprim26transform_input_iterator_tIS9_NS6_12zip_iteratorINS7_INS6_17counting_iteratorIiNS6_11use_defaultESG_SG_EENS6_6detail15normal_iteratorINS6_10device_ptrIfEEEES8_S8_S8_S8_S8_S8_S8_S8_EEEE15transform_tupleIifEEEPS9_S9_12reduce_tupleIifEEE10hipError_tPvRmT1_T2_T3_mT4_P12ihipStream_tbEUlT_E0_NS1_11comp_targetILNS1_3genE5ELNS1_11target_archE942ELNS1_3gpuE9ELNS1_3repE0EEENS1_30default_config_static_selectorELNS0_4arch9wavefront6targetE1EEEvSY_
	.p2align	8
	.type	_ZN7rocprim17ROCPRIM_400000_NS6detail17trampoline_kernelINS0_14default_configENS1_22reduce_config_selectorIN6thrust23THRUST_200600_302600_NS5tupleIbffNS6_9null_typeES8_S8_S8_S8_S8_S8_EEEEZNS1_11reduce_implILb1ES3_NS6_11hip_rocprim26transform_input_iterator_tIS9_NS6_12zip_iteratorINS7_INS6_17counting_iteratorIiNS6_11use_defaultESG_SG_EENS6_6detail15normal_iteratorINS6_10device_ptrIfEEEES8_S8_S8_S8_S8_S8_S8_S8_EEEE15transform_tupleIifEEEPS9_S9_12reduce_tupleIifEEE10hipError_tPvRmT1_T2_T3_mT4_P12ihipStream_tbEUlT_E0_NS1_11comp_targetILNS1_3genE5ELNS1_11target_archE942ELNS1_3gpuE9ELNS1_3repE0EEENS1_30default_config_static_selectorELNS0_4arch9wavefront6targetE1EEEvSY_,@function
_ZN7rocprim17ROCPRIM_400000_NS6detail17trampoline_kernelINS0_14default_configENS1_22reduce_config_selectorIN6thrust23THRUST_200600_302600_NS5tupleIbffNS6_9null_typeES8_S8_S8_S8_S8_S8_EEEEZNS1_11reduce_implILb1ES3_NS6_11hip_rocprim26transform_input_iterator_tIS9_NS6_12zip_iteratorINS7_INS6_17counting_iteratorIiNS6_11use_defaultESG_SG_EENS6_6detail15normal_iteratorINS6_10device_ptrIfEEEES8_S8_S8_S8_S8_S8_S8_S8_EEEE15transform_tupleIifEEEPS9_S9_12reduce_tupleIifEEE10hipError_tPvRmT1_T2_T3_mT4_P12ihipStream_tbEUlT_E0_NS1_11comp_targetILNS1_3genE5ELNS1_11target_archE942ELNS1_3gpuE9ELNS1_3repE0EEENS1_30default_config_static_selectorELNS0_4arch9wavefront6targetE1EEEvSY_: ; @_ZN7rocprim17ROCPRIM_400000_NS6detail17trampoline_kernelINS0_14default_configENS1_22reduce_config_selectorIN6thrust23THRUST_200600_302600_NS5tupleIbffNS6_9null_typeES8_S8_S8_S8_S8_S8_EEEEZNS1_11reduce_implILb1ES3_NS6_11hip_rocprim26transform_input_iterator_tIS9_NS6_12zip_iteratorINS7_INS6_17counting_iteratorIiNS6_11use_defaultESG_SG_EENS6_6detail15normal_iteratorINS6_10device_ptrIfEEEES8_S8_S8_S8_S8_S8_S8_S8_EEEE15transform_tupleIifEEEPS9_S9_12reduce_tupleIifEEE10hipError_tPvRmT1_T2_T3_mT4_P12ihipStream_tbEUlT_E0_NS1_11comp_targetILNS1_3genE5ELNS1_11target_archE942ELNS1_3gpuE9ELNS1_3repE0EEENS1_30default_config_static_selectorELNS0_4arch9wavefront6targetE1EEEvSY_
; %bb.0:
	.section	.rodata,"a",@progbits
	.p2align	6, 0x0
	.amdhsa_kernel _ZN7rocprim17ROCPRIM_400000_NS6detail17trampoline_kernelINS0_14default_configENS1_22reduce_config_selectorIN6thrust23THRUST_200600_302600_NS5tupleIbffNS6_9null_typeES8_S8_S8_S8_S8_S8_EEEEZNS1_11reduce_implILb1ES3_NS6_11hip_rocprim26transform_input_iterator_tIS9_NS6_12zip_iteratorINS7_INS6_17counting_iteratorIiNS6_11use_defaultESG_SG_EENS6_6detail15normal_iteratorINS6_10device_ptrIfEEEES8_S8_S8_S8_S8_S8_S8_S8_EEEE15transform_tupleIifEEEPS9_S9_12reduce_tupleIifEEE10hipError_tPvRmT1_T2_T3_mT4_P12ihipStream_tbEUlT_E0_NS1_11comp_targetILNS1_3genE5ELNS1_11target_archE942ELNS1_3gpuE9ELNS1_3repE0EEENS1_30default_config_static_selectorELNS0_4arch9wavefront6targetE1EEEvSY_
		.amdhsa_group_segment_fixed_size 0
		.amdhsa_private_segment_fixed_size 0
		.amdhsa_kernarg_size 80
		.amdhsa_user_sgpr_count 6
		.amdhsa_user_sgpr_private_segment_buffer 1
		.amdhsa_user_sgpr_dispatch_ptr 0
		.amdhsa_user_sgpr_queue_ptr 0
		.amdhsa_user_sgpr_kernarg_segment_ptr 1
		.amdhsa_user_sgpr_dispatch_id 0
		.amdhsa_user_sgpr_flat_scratch_init 0
		.amdhsa_user_sgpr_kernarg_preload_length 0
		.amdhsa_user_sgpr_kernarg_preload_offset 0
		.amdhsa_user_sgpr_private_segment_size 0
		.amdhsa_uses_dynamic_stack 0
		.amdhsa_system_sgpr_private_segment_wavefront_offset 0
		.amdhsa_system_sgpr_workgroup_id_x 1
		.amdhsa_system_sgpr_workgroup_id_y 0
		.amdhsa_system_sgpr_workgroup_id_z 0
		.amdhsa_system_sgpr_workgroup_info 0
		.amdhsa_system_vgpr_workitem_id 0
		.amdhsa_next_free_vgpr 1
		.amdhsa_next_free_sgpr 0
		.amdhsa_accum_offset 4
		.amdhsa_reserve_vcc 0
		.amdhsa_reserve_flat_scratch 0
		.amdhsa_float_round_mode_32 0
		.amdhsa_float_round_mode_16_64 0
		.amdhsa_float_denorm_mode_32 3
		.amdhsa_float_denorm_mode_16_64 3
		.amdhsa_dx10_clamp 1
		.amdhsa_ieee_mode 1
		.amdhsa_fp16_overflow 0
		.amdhsa_tg_split 0
		.amdhsa_exception_fp_ieee_invalid_op 0
		.amdhsa_exception_fp_denorm_src 0
		.amdhsa_exception_fp_ieee_div_zero 0
		.amdhsa_exception_fp_ieee_overflow 0
		.amdhsa_exception_fp_ieee_underflow 0
		.amdhsa_exception_fp_ieee_inexact 0
		.amdhsa_exception_int_div_zero 0
	.end_amdhsa_kernel
	.section	.text._ZN7rocprim17ROCPRIM_400000_NS6detail17trampoline_kernelINS0_14default_configENS1_22reduce_config_selectorIN6thrust23THRUST_200600_302600_NS5tupleIbffNS6_9null_typeES8_S8_S8_S8_S8_S8_EEEEZNS1_11reduce_implILb1ES3_NS6_11hip_rocprim26transform_input_iterator_tIS9_NS6_12zip_iteratorINS7_INS6_17counting_iteratorIiNS6_11use_defaultESG_SG_EENS6_6detail15normal_iteratorINS6_10device_ptrIfEEEES8_S8_S8_S8_S8_S8_S8_S8_EEEE15transform_tupleIifEEEPS9_S9_12reduce_tupleIifEEE10hipError_tPvRmT1_T2_T3_mT4_P12ihipStream_tbEUlT_E0_NS1_11comp_targetILNS1_3genE5ELNS1_11target_archE942ELNS1_3gpuE9ELNS1_3repE0EEENS1_30default_config_static_selectorELNS0_4arch9wavefront6targetE1EEEvSY_,"axG",@progbits,_ZN7rocprim17ROCPRIM_400000_NS6detail17trampoline_kernelINS0_14default_configENS1_22reduce_config_selectorIN6thrust23THRUST_200600_302600_NS5tupleIbffNS6_9null_typeES8_S8_S8_S8_S8_S8_EEEEZNS1_11reduce_implILb1ES3_NS6_11hip_rocprim26transform_input_iterator_tIS9_NS6_12zip_iteratorINS7_INS6_17counting_iteratorIiNS6_11use_defaultESG_SG_EENS6_6detail15normal_iteratorINS6_10device_ptrIfEEEES8_S8_S8_S8_S8_S8_S8_S8_EEEE15transform_tupleIifEEEPS9_S9_12reduce_tupleIifEEE10hipError_tPvRmT1_T2_T3_mT4_P12ihipStream_tbEUlT_E0_NS1_11comp_targetILNS1_3genE5ELNS1_11target_archE942ELNS1_3gpuE9ELNS1_3repE0EEENS1_30default_config_static_selectorELNS0_4arch9wavefront6targetE1EEEvSY_,comdat
.Lfunc_end20:
	.size	_ZN7rocprim17ROCPRIM_400000_NS6detail17trampoline_kernelINS0_14default_configENS1_22reduce_config_selectorIN6thrust23THRUST_200600_302600_NS5tupleIbffNS6_9null_typeES8_S8_S8_S8_S8_S8_EEEEZNS1_11reduce_implILb1ES3_NS6_11hip_rocprim26transform_input_iterator_tIS9_NS6_12zip_iteratorINS7_INS6_17counting_iteratorIiNS6_11use_defaultESG_SG_EENS6_6detail15normal_iteratorINS6_10device_ptrIfEEEES8_S8_S8_S8_S8_S8_S8_S8_EEEE15transform_tupleIifEEEPS9_S9_12reduce_tupleIifEEE10hipError_tPvRmT1_T2_T3_mT4_P12ihipStream_tbEUlT_E0_NS1_11comp_targetILNS1_3genE5ELNS1_11target_archE942ELNS1_3gpuE9ELNS1_3repE0EEENS1_30default_config_static_selectorELNS0_4arch9wavefront6targetE1EEEvSY_, .Lfunc_end20-_ZN7rocprim17ROCPRIM_400000_NS6detail17trampoline_kernelINS0_14default_configENS1_22reduce_config_selectorIN6thrust23THRUST_200600_302600_NS5tupleIbffNS6_9null_typeES8_S8_S8_S8_S8_S8_EEEEZNS1_11reduce_implILb1ES3_NS6_11hip_rocprim26transform_input_iterator_tIS9_NS6_12zip_iteratorINS7_INS6_17counting_iteratorIiNS6_11use_defaultESG_SG_EENS6_6detail15normal_iteratorINS6_10device_ptrIfEEEES8_S8_S8_S8_S8_S8_S8_S8_EEEE15transform_tupleIifEEEPS9_S9_12reduce_tupleIifEEE10hipError_tPvRmT1_T2_T3_mT4_P12ihipStream_tbEUlT_E0_NS1_11comp_targetILNS1_3genE5ELNS1_11target_archE942ELNS1_3gpuE9ELNS1_3repE0EEENS1_30default_config_static_selectorELNS0_4arch9wavefront6targetE1EEEvSY_
                                        ; -- End function
	.section	.AMDGPU.csdata,"",@progbits
; Kernel info:
; codeLenInByte = 0
; NumSgprs: 4
; NumVgprs: 0
; NumAgprs: 0
; TotalNumVgprs: 0
; ScratchSize: 0
; MemoryBound: 0
; FloatMode: 240
; IeeeMode: 1
; LDSByteSize: 0 bytes/workgroup (compile time only)
; SGPRBlocks: 0
; VGPRBlocks: 0
; NumSGPRsForWavesPerEU: 4
; NumVGPRsForWavesPerEU: 1
; AccumOffset: 4
; Occupancy: 8
; WaveLimiterHint : 0
; COMPUTE_PGM_RSRC2:SCRATCH_EN: 0
; COMPUTE_PGM_RSRC2:USER_SGPR: 6
; COMPUTE_PGM_RSRC2:TRAP_HANDLER: 0
; COMPUTE_PGM_RSRC2:TGID_X_EN: 1
; COMPUTE_PGM_RSRC2:TGID_Y_EN: 0
; COMPUTE_PGM_RSRC2:TGID_Z_EN: 0
; COMPUTE_PGM_RSRC2:TIDIG_COMP_CNT: 0
; COMPUTE_PGM_RSRC3_GFX90A:ACCUM_OFFSET: 0
; COMPUTE_PGM_RSRC3_GFX90A:TG_SPLIT: 0
	.section	.text._ZN7rocprim17ROCPRIM_400000_NS6detail17trampoline_kernelINS0_14default_configENS1_22reduce_config_selectorIN6thrust23THRUST_200600_302600_NS5tupleIbffNS6_9null_typeES8_S8_S8_S8_S8_S8_EEEEZNS1_11reduce_implILb1ES3_NS6_11hip_rocprim26transform_input_iterator_tIS9_NS6_12zip_iteratorINS7_INS6_17counting_iteratorIiNS6_11use_defaultESG_SG_EENS6_6detail15normal_iteratorINS6_10device_ptrIfEEEES8_S8_S8_S8_S8_S8_S8_S8_EEEE15transform_tupleIifEEEPS9_S9_12reduce_tupleIifEEE10hipError_tPvRmT1_T2_T3_mT4_P12ihipStream_tbEUlT_E0_NS1_11comp_targetILNS1_3genE4ELNS1_11target_archE910ELNS1_3gpuE8ELNS1_3repE0EEENS1_30default_config_static_selectorELNS0_4arch9wavefront6targetE1EEEvSY_,"axG",@progbits,_ZN7rocprim17ROCPRIM_400000_NS6detail17trampoline_kernelINS0_14default_configENS1_22reduce_config_selectorIN6thrust23THRUST_200600_302600_NS5tupleIbffNS6_9null_typeES8_S8_S8_S8_S8_S8_EEEEZNS1_11reduce_implILb1ES3_NS6_11hip_rocprim26transform_input_iterator_tIS9_NS6_12zip_iteratorINS7_INS6_17counting_iteratorIiNS6_11use_defaultESG_SG_EENS6_6detail15normal_iteratorINS6_10device_ptrIfEEEES8_S8_S8_S8_S8_S8_S8_S8_EEEE15transform_tupleIifEEEPS9_S9_12reduce_tupleIifEEE10hipError_tPvRmT1_T2_T3_mT4_P12ihipStream_tbEUlT_E0_NS1_11comp_targetILNS1_3genE4ELNS1_11target_archE910ELNS1_3gpuE8ELNS1_3repE0EEENS1_30default_config_static_selectorELNS0_4arch9wavefront6targetE1EEEvSY_,comdat
	.protected	_ZN7rocprim17ROCPRIM_400000_NS6detail17trampoline_kernelINS0_14default_configENS1_22reduce_config_selectorIN6thrust23THRUST_200600_302600_NS5tupleIbffNS6_9null_typeES8_S8_S8_S8_S8_S8_EEEEZNS1_11reduce_implILb1ES3_NS6_11hip_rocprim26transform_input_iterator_tIS9_NS6_12zip_iteratorINS7_INS6_17counting_iteratorIiNS6_11use_defaultESG_SG_EENS6_6detail15normal_iteratorINS6_10device_ptrIfEEEES8_S8_S8_S8_S8_S8_S8_S8_EEEE15transform_tupleIifEEEPS9_S9_12reduce_tupleIifEEE10hipError_tPvRmT1_T2_T3_mT4_P12ihipStream_tbEUlT_E0_NS1_11comp_targetILNS1_3genE4ELNS1_11target_archE910ELNS1_3gpuE8ELNS1_3repE0EEENS1_30default_config_static_selectorELNS0_4arch9wavefront6targetE1EEEvSY_ ; -- Begin function _ZN7rocprim17ROCPRIM_400000_NS6detail17trampoline_kernelINS0_14default_configENS1_22reduce_config_selectorIN6thrust23THRUST_200600_302600_NS5tupleIbffNS6_9null_typeES8_S8_S8_S8_S8_S8_EEEEZNS1_11reduce_implILb1ES3_NS6_11hip_rocprim26transform_input_iterator_tIS9_NS6_12zip_iteratorINS7_INS6_17counting_iteratorIiNS6_11use_defaultESG_SG_EENS6_6detail15normal_iteratorINS6_10device_ptrIfEEEES8_S8_S8_S8_S8_S8_S8_S8_EEEE15transform_tupleIifEEEPS9_S9_12reduce_tupleIifEEE10hipError_tPvRmT1_T2_T3_mT4_P12ihipStream_tbEUlT_E0_NS1_11comp_targetILNS1_3genE4ELNS1_11target_archE910ELNS1_3gpuE8ELNS1_3repE0EEENS1_30default_config_static_selectorELNS0_4arch9wavefront6targetE1EEEvSY_
	.globl	_ZN7rocprim17ROCPRIM_400000_NS6detail17trampoline_kernelINS0_14default_configENS1_22reduce_config_selectorIN6thrust23THRUST_200600_302600_NS5tupleIbffNS6_9null_typeES8_S8_S8_S8_S8_S8_EEEEZNS1_11reduce_implILb1ES3_NS6_11hip_rocprim26transform_input_iterator_tIS9_NS6_12zip_iteratorINS7_INS6_17counting_iteratorIiNS6_11use_defaultESG_SG_EENS6_6detail15normal_iteratorINS6_10device_ptrIfEEEES8_S8_S8_S8_S8_S8_S8_S8_EEEE15transform_tupleIifEEEPS9_S9_12reduce_tupleIifEEE10hipError_tPvRmT1_T2_T3_mT4_P12ihipStream_tbEUlT_E0_NS1_11comp_targetILNS1_3genE4ELNS1_11target_archE910ELNS1_3gpuE8ELNS1_3repE0EEENS1_30default_config_static_selectorELNS0_4arch9wavefront6targetE1EEEvSY_
	.p2align	8
	.type	_ZN7rocprim17ROCPRIM_400000_NS6detail17trampoline_kernelINS0_14default_configENS1_22reduce_config_selectorIN6thrust23THRUST_200600_302600_NS5tupleIbffNS6_9null_typeES8_S8_S8_S8_S8_S8_EEEEZNS1_11reduce_implILb1ES3_NS6_11hip_rocprim26transform_input_iterator_tIS9_NS6_12zip_iteratorINS7_INS6_17counting_iteratorIiNS6_11use_defaultESG_SG_EENS6_6detail15normal_iteratorINS6_10device_ptrIfEEEES8_S8_S8_S8_S8_S8_S8_S8_EEEE15transform_tupleIifEEEPS9_S9_12reduce_tupleIifEEE10hipError_tPvRmT1_T2_T3_mT4_P12ihipStream_tbEUlT_E0_NS1_11comp_targetILNS1_3genE4ELNS1_11target_archE910ELNS1_3gpuE8ELNS1_3repE0EEENS1_30default_config_static_selectorELNS0_4arch9wavefront6targetE1EEEvSY_,@function
_ZN7rocprim17ROCPRIM_400000_NS6detail17trampoline_kernelINS0_14default_configENS1_22reduce_config_selectorIN6thrust23THRUST_200600_302600_NS5tupleIbffNS6_9null_typeES8_S8_S8_S8_S8_S8_EEEEZNS1_11reduce_implILb1ES3_NS6_11hip_rocprim26transform_input_iterator_tIS9_NS6_12zip_iteratorINS7_INS6_17counting_iteratorIiNS6_11use_defaultESG_SG_EENS6_6detail15normal_iteratorINS6_10device_ptrIfEEEES8_S8_S8_S8_S8_S8_S8_S8_EEEE15transform_tupleIifEEEPS9_S9_12reduce_tupleIifEEE10hipError_tPvRmT1_T2_T3_mT4_P12ihipStream_tbEUlT_E0_NS1_11comp_targetILNS1_3genE4ELNS1_11target_archE910ELNS1_3gpuE8ELNS1_3repE0EEENS1_30default_config_static_selectorELNS0_4arch9wavefront6targetE1EEEvSY_: ; @_ZN7rocprim17ROCPRIM_400000_NS6detail17trampoline_kernelINS0_14default_configENS1_22reduce_config_selectorIN6thrust23THRUST_200600_302600_NS5tupleIbffNS6_9null_typeES8_S8_S8_S8_S8_S8_EEEEZNS1_11reduce_implILb1ES3_NS6_11hip_rocprim26transform_input_iterator_tIS9_NS6_12zip_iteratorINS7_INS6_17counting_iteratorIiNS6_11use_defaultESG_SG_EENS6_6detail15normal_iteratorINS6_10device_ptrIfEEEES8_S8_S8_S8_S8_S8_S8_S8_EEEE15transform_tupleIifEEEPS9_S9_12reduce_tupleIifEEE10hipError_tPvRmT1_T2_T3_mT4_P12ihipStream_tbEUlT_E0_NS1_11comp_targetILNS1_3genE4ELNS1_11target_archE910ELNS1_3gpuE8ELNS1_3repE0EEENS1_30default_config_static_selectorELNS0_4arch9wavefront6targetE1EEEvSY_
; %bb.0:
	s_load_dwordx8 s[8:15], s[4:5], 0x18
	s_load_dwordx4 s[16:19], s[4:5], 0x8
	s_load_dword s2, s[4:5], 0x0
	s_load_dwordx2 s[20:21], s[4:5], 0x38
	v_lshlrev_b32_e32 v1, 2, v0
	s_waitcnt lgkmcnt(0)
	s_lshl_b64 s[0:1], s[8:9], 2
	s_add_u32 s9, s16, s0
	s_addc_u32 s22, s17, s1
	s_lshl_b32 s16, s6, 9
	s_mov_b32 s17, 0
	s_add_i32 s24, s2, s16
	s_lshr_b64 s[0:1], s[10:11], 9
	s_add_i32 s24, s24, s8
	s_lshl_b64 s[2:3], s[16:17], 2
	s_add_u32 s8, s9, s2
	s_mov_b32 s7, s17
	s_addc_u32 s9, s22, s3
	s_cmp_lg_u64 s[0:1], s[6:7]
	s_cbranch_scc0 .LBB21_40
; %bb.1:
	global_load_dword v2, v1, s[8:9] offset:1024
	s_abs_i32 s2, s19
	v_cvt_f32_u32_e32 v3, s2
	s_sub_i32 s0, 0, s2
	v_add_u32_e32 v4, s24, v0
	v_sub_u32_e32 v6, 0, v4
	v_rcp_iflag_f32_e32 v3, v3
	v_max_i32_e32 v6, v4, v6
	v_ashrrev_i32_e32 v5, 31, v4
	v_add_u32_e32 v4, 0x100, v4
	v_mul_f32_e32 v3, 0x4f7ffffe, v3
	v_cvt_u32_f32_e32 v3, v3
	v_mul_lo_u32 v7, s0, v3
	v_mul_hi_u32 v7, v3, v7
	v_add_u32_e32 v3, v3, v7
	v_mul_hi_u32 v7, v6, v3
	v_mul_lo_u32 v7, v7, s2
	v_sub_u32_e32 v6, v6, v7
	v_subrev_u32_e32 v7, s2, v6
	v_cmp_le_u32_e32 vcc, s2, v6
	v_cndmask_b32_e32 v6, v6, v7, vcc
	v_subrev_u32_e32 v7, s2, v6
	v_cmp_le_u32_e32 vcc, s2, v6
	v_cndmask_b32_e32 v6, v6, v7, vcc
	v_xor_b32_e32 v6, v6, v5
	v_sub_u32_e32 v5, v6, v5
	v_sub_u32_e32 v6, 0, v4
	v_cmp_gt_i32_e64 s[0:1], s18, v5
	v_ashrrev_i32_e32 v5, 31, v4
	v_max_i32_e32 v4, v4, v6
	v_mul_hi_u32 v3, v4, v3
	v_mul_lo_u32 v3, v3, s2
	v_sub_u32_e32 v3, v4, v3
	v_subrev_u32_e32 v4, s2, v3
	v_cmp_le_u32_e32 vcc, s2, v3
	v_cndmask_b32_e32 v3, v3, v4, vcc
	v_subrev_u32_e32 v4, s2, v3
	v_cmp_le_u32_e32 vcc, s2, v3
	v_cndmask_b32_e32 v3, v3, v4, vcc
	v_xor_b32_e32 v3, v3, v5
	v_sub_u32_e32 v3, v3, v5
	v_cmp_gt_i32_e32 vcc, s18, v3
	v_cndmask_b32_e64 v6, 0, 1, vcc
	s_waitcnt vmcnt(0)
	v_mov_b32_e32 v3, v2
	s_and_saveexec_b64 s[22:23], s[0:1]
	s_cbranch_execz .LBB21_3
; %bb.2:
	v_mov_b32_e32 v3, s9
	v_add_co_u32_e64 v4, s[0:1], s8, v1
	v_addc_co_u32_e64 v5, s[0:1], 0, v3, s[0:1]
	global_load_dword v3, v[4:5], off
	v_mov_b32_e32 v6, 1
	s_waitcnt vmcnt(0)
	v_cmp_lt_f32_e64 s[0:1], v2, v3
	v_cmp_lt_f32_e64 s[2:3], v3, v2
	s_and_b64 s[0:1], vcc, s[0:1]
	s_and_b64 vcc, vcc, s[2:3]
	v_cndmask_b32_e64 v4, v3, v2, s[0:1]
	v_cndmask_b32_e32 v5, v3, v2, vcc
	v_pk_mov_b32 v[2:3], v[4:5], v[4:5] op_sel:[0,1]
.LBB21_3:
	s_or_b64 exec, exec, s[22:23]
	v_and_b32_e32 v4, 0xffff, v6
	v_mov_b32_dpp v5, v3 quad_perm:[1,0,3,2] row_mask:0xf bank_mask:0xf bound_ctrl:1
	s_nop 0
	v_mov_b32_dpp v7, v4 quad_perm:[1,0,3,2] row_mask:0xf bank_mask:0xf bound_ctrl:1
	v_and_b32_e32 v8, 1, v7
	v_mov_b32_dpp v4, v2 quad_perm:[1,0,3,2] row_mask:0xf bank_mask:0xf bound_ctrl:1
	v_cmp_eq_u32_e32 vcc, 1, v8
	s_and_saveexec_b64 s[0:1], vcc
	s_cbranch_execz .LBB21_7
; %bb.4:
	v_and_b32_e32 v6, 1, v6
	v_cmp_eq_u32_e32 vcc, 1, v6
	s_and_saveexec_b64 s[2:3], vcc
; %bb.5:
	v_cmp_gt_f32_e32 vcc, v3, v5
	v_cndmask_b32_e32 v5, v5, v3, vcc
	v_cmp_lt_f32_e32 vcc, v2, v4
	v_cndmask_b32_e32 v4, v4, v2, vcc
	v_mov_b32_e32 v7, 1
; %bb.6:
	s_or_b64 exec, exec, s[2:3]
	v_mov_b32_e32 v6, v7
	v_pk_mov_b32 v[2:3], v[4:5], v[4:5] op_sel:[0,1]
.LBB21_7:
	s_or_b64 exec, exec, s[0:1]
	v_and_b32_e32 v4, 0xff, v6
	v_mov_b32_dpp v5, v3 quad_perm:[2,3,0,1] row_mask:0xf bank_mask:0xf bound_ctrl:1
	s_nop 0
	v_mov_b32_dpp v7, v4 quad_perm:[2,3,0,1] row_mask:0xf bank_mask:0xf bound_ctrl:1
	v_and_b32_e32 v8, 1, v7
	v_mov_b32_dpp v4, v2 quad_perm:[2,3,0,1] row_mask:0xf bank_mask:0xf bound_ctrl:1
	v_cmp_eq_u32_e32 vcc, 1, v8
	s_and_saveexec_b64 s[0:1], vcc
	s_cbranch_execz .LBB21_11
; %bb.8:
	v_and_b32_e32 v6, 1, v6
	v_cmp_eq_u32_e32 vcc, 1, v6
	s_and_saveexec_b64 s[2:3], vcc
; %bb.9:
	v_cmp_lt_f32_e32 vcc, v5, v3
	v_cndmask_b32_e32 v5, v5, v3, vcc
	v_cmp_lt_f32_e32 vcc, v2, v4
	v_cndmask_b32_e32 v4, v4, v2, vcc
	v_mov_b32_e32 v7, 1
; %bb.10:
	s_or_b64 exec, exec, s[2:3]
	v_mov_b32_e32 v6, v7
	v_pk_mov_b32 v[2:3], v[4:5], v[4:5] op_sel:[0,1]
.LBB21_11:
	s_or_b64 exec, exec, s[0:1]
	v_and_b32_e32 v4, 0xff, v6
	v_mov_b32_dpp v5, v3 row_ror:4 row_mask:0xf bank_mask:0xf bound_ctrl:1
	s_nop 0
	v_mov_b32_dpp v7, v4 row_ror:4 row_mask:0xf bank_mask:0xf bound_ctrl:1
	v_and_b32_e32 v8, 1, v7
	v_mov_b32_dpp v4, v2 row_ror:4 row_mask:0xf bank_mask:0xf bound_ctrl:1
	v_cmp_eq_u32_e32 vcc, 1, v8
	s_and_saveexec_b64 s[0:1], vcc
	s_cbranch_execz .LBB21_15
; %bb.12:
	v_and_b32_e32 v6, 1, v6
	v_cmp_eq_u32_e32 vcc, 1, v6
	s_and_saveexec_b64 s[2:3], vcc
; %bb.13:
	v_cmp_lt_f32_e32 vcc, v5, v3
	v_cndmask_b32_e32 v5, v5, v3, vcc
	v_cmp_lt_f32_e32 vcc, v2, v4
	v_cndmask_b32_e32 v4, v4, v2, vcc
	v_mov_b32_e32 v7, 1
; %bb.14:
	s_or_b64 exec, exec, s[2:3]
	v_mov_b32_e32 v6, v7
	v_pk_mov_b32 v[2:3], v[4:5], v[4:5] op_sel:[0,1]
.LBB21_15:
	s_or_b64 exec, exec, s[0:1]
	v_and_b32_e32 v4, 0xff, v6
	v_mov_b32_dpp v5, v3 row_ror:8 row_mask:0xf bank_mask:0xf bound_ctrl:1
	s_nop 0
	v_mov_b32_dpp v7, v4 row_ror:8 row_mask:0xf bank_mask:0xf bound_ctrl:1
	v_and_b32_e32 v8, 1, v7
	v_mov_b32_dpp v4, v2 row_ror:8 row_mask:0xf bank_mask:0xf bound_ctrl:1
	v_cmp_eq_u32_e32 vcc, 1, v8
	s_and_saveexec_b64 s[0:1], vcc
	s_cbranch_execz .LBB21_19
; %bb.16:
	v_and_b32_e32 v6, 1, v6
	v_cmp_eq_u32_e32 vcc, 1, v6
	s_and_saveexec_b64 s[2:3], vcc
; %bb.17:
	v_cmp_lt_f32_e32 vcc, v5, v3
	v_cndmask_b32_e32 v5, v5, v3, vcc
	v_cmp_lt_f32_e32 vcc, v2, v4
	v_cndmask_b32_e32 v4, v4, v2, vcc
	v_mov_b32_e32 v7, 1
; %bb.18:
	s_or_b64 exec, exec, s[2:3]
	v_mov_b32_e32 v6, v7
	v_pk_mov_b32 v[2:3], v[4:5], v[4:5] op_sel:[0,1]
.LBB21_19:
	s_or_b64 exec, exec, s[0:1]
	v_and_b32_e32 v4, 0xff, v6
	v_mov_b32_dpp v5, v3 row_bcast:15 row_mask:0xf bank_mask:0xf bound_ctrl:1
	s_nop 0
	v_mov_b32_dpp v7, v4 row_bcast:15 row_mask:0xf bank_mask:0xf bound_ctrl:1
	v_and_b32_e32 v8, 1, v7
	v_mov_b32_dpp v4, v2 row_bcast:15 row_mask:0xf bank_mask:0xf bound_ctrl:1
	v_cmp_eq_u32_e32 vcc, 1, v8
	s_and_saveexec_b64 s[0:1], vcc
	s_cbranch_execz .LBB21_23
; %bb.20:
	v_and_b32_e32 v6, 1, v6
	v_cmp_eq_u32_e32 vcc, 1, v6
	s_and_saveexec_b64 s[2:3], vcc
; %bb.21:
	v_cmp_lt_f32_e32 vcc, v5, v3
	v_cndmask_b32_e32 v5, v5, v3, vcc
	v_cmp_lt_f32_e32 vcc, v2, v4
	v_cndmask_b32_e32 v4, v4, v2, vcc
	v_mov_b32_e32 v7, 1
; %bb.22:
	s_or_b64 exec, exec, s[2:3]
	v_mov_b32_e32 v6, v7
	v_pk_mov_b32 v[2:3], v[4:5], v[4:5] op_sel:[0,1]
.LBB21_23:
	s_or_b64 exec, exec, s[0:1]
	v_and_b32_e32 v4, 0xff, v6
	v_mov_b32_dpp v5, v3 row_bcast:31 row_mask:0xf bank_mask:0xf bound_ctrl:1
	s_nop 0
	v_mov_b32_dpp v7, v4 row_bcast:31 row_mask:0xf bank_mask:0xf bound_ctrl:1
	v_and_b32_e32 v8, 1, v7
	v_mov_b32_dpp v4, v2 row_bcast:31 row_mask:0xf bank_mask:0xf bound_ctrl:1
	v_cmp_eq_u32_e32 vcc, 1, v8
	s_and_saveexec_b64 s[0:1], vcc
	s_cbranch_execz .LBB21_27
; %bb.24:
	v_and_b32_e32 v6, 1, v6
	v_cmp_eq_u32_e32 vcc, 1, v6
	s_and_saveexec_b64 s[2:3], vcc
; %bb.25:
	v_cmp_lt_f32_e32 vcc, v5, v3
	v_cndmask_b32_e32 v5, v5, v3, vcc
	v_cmp_lt_f32_e32 vcc, v2, v4
	v_cndmask_b32_e32 v4, v4, v2, vcc
	v_mov_b32_e32 v7, 1
; %bb.26:
	s_or_b64 exec, exec, s[2:3]
	v_mov_b32_e32 v6, v7
	v_pk_mov_b32 v[2:3], v[4:5], v[4:5] op_sel:[0,1]
.LBB21_27:
	s_or_b64 exec, exec, s[0:1]
	v_mbcnt_lo_u32_b32 v4, -1, 0
	v_mbcnt_hi_u32_b32 v7, -1, v4
	v_bfrev_b32_e32 v5, 0.5
	v_and_b32_e32 v4, 0xff, v6
	v_lshl_or_b32 v5, v7, 2, v5
	ds_bpermute_b32 v9, v5, v4
	ds_bpermute_b32 v2, v5, v2
	;; [unrolled: 1-line block ×3, first 2 shown]
	v_cmp_eq_u32_e32 vcc, 0, v7
	s_and_saveexec_b64 s[0:1], vcc
	s_cbranch_execz .LBB21_29
; %bb.28:
	v_lshrrev_b32_e32 v4, 6, v0
	v_mul_u32_u24_e32 v4, 12, v4
	s_waitcnt lgkmcnt(2)
	ds_write_b8 v4, v9 offset:48
	s_waitcnt lgkmcnt(1)
	ds_write2_b32 v4, v2, v3 offset0:13 offset1:14
.LBB21_29:
	s_or_b64 exec, exec, s[0:1]
	v_cmp_gt_u32_e32 vcc, 64, v0
	s_waitcnt lgkmcnt(0)
	s_barrier
	s_and_saveexec_b64 s[0:1], vcc
	s_cbranch_execz .LBB21_39
; %bb.30:
	v_and_b32_e32 v8, 3, v7
	v_mul_u32_u24_e32 v2, 12, v8
	ds_read_u8 v9, v2 offset:48
	ds_read2_b32 v[2:3], v2 offset0:13 offset1:14
	v_cmp_ne_u32_e32 vcc, 3, v8
	v_addc_co_u32_e32 v4, vcc, 0, v7, vcc
	s_waitcnt lgkmcnt(1)
	v_and_b32_e32 v5, 0xff, v9
	v_lshlrev_b32_e32 v10, 2, v4
	ds_bpermute_b32 v6, v10, v5
	s_waitcnt lgkmcnt(1)
	ds_bpermute_b32 v4, v10, v2
	ds_bpermute_b32 v5, v10, v3
	v_and_b32_e32 v10, 1, v9
	v_cmp_eq_u32_e32 vcc, 1, v10
	s_and_saveexec_b64 s[2:3], vcc
	s_cbranch_execz .LBB21_34
; %bb.31:
	s_waitcnt lgkmcnt(2)
	v_and_b32_e32 v6, 1, v6
	v_cmp_eq_u32_e32 vcc, 1, v6
	s_and_saveexec_b64 s[22:23], vcc
	s_cbranch_execz .LBB21_33
; %bb.32:
	s_waitcnt lgkmcnt(0)
	v_cmp_gt_f32_e32 vcc, v5, v3
	v_cndmask_b32_e32 v3, v3, v5, vcc
	v_cmp_gt_f32_e32 vcc, v2, v4
	v_cndmask_b32_e32 v2, v2, v4, vcc
	v_mov_b32_e32 v9, 1
.LBB21_33:
	s_or_b64 exec, exec, s[22:23]
	v_mov_b32_e32 v6, v9
	s_waitcnt lgkmcnt(0)
	v_pk_mov_b32 v[4:5], v[2:3], v[2:3] op_sel:[0,1]
.LBB21_34:
	s_or_b64 exec, exec, s[2:3]
	v_cmp_gt_u32_e32 vcc, 2, v8
	v_cndmask_b32_e64 v3, 0, 1, vcc
	v_lshlrev_b32_e32 v3, 1, v3
	s_waitcnt lgkmcnt(2)
	v_and_b32_e32 v2, 0xff, v6
	v_add_lshl_u32 v3, v3, v7, 2
	ds_bpermute_b32 v7, v3, v2
	s_waitcnt lgkmcnt(2)
	ds_bpermute_b32 v2, v3, v4
	s_waitcnt lgkmcnt(2)
	ds_bpermute_b32 v3, v3, v5
	v_and_b32_e32 v8, 1, v6
	v_cmp_eq_u32_e32 vcc, 1, v8
	s_and_saveexec_b64 s[2:3], vcc
	s_cbranch_execz .LBB21_38
; %bb.35:
	s_waitcnt lgkmcnt(2)
	v_and_b32_e32 v7, 1, v7
	v_cmp_eq_u32_e32 vcc, 1, v7
	s_and_saveexec_b64 s[22:23], vcc
	s_cbranch_execz .LBB21_37
; %bb.36:
	s_waitcnt lgkmcnt(0)
	v_cmp_gt_f32_e32 vcc, v3, v5
	v_cndmask_b32_e32 v5, v5, v3, vcc
	v_cmp_gt_f32_e32 vcc, v4, v2
	v_cndmask_b32_e32 v4, v4, v2, vcc
	v_mov_b32_e32 v6, 1
.LBB21_37:
	s_or_b64 exec, exec, s[22:23]
	v_mov_b32_e32 v7, v6
	s_waitcnt lgkmcnt(0)
	v_pk_mov_b32 v[2:3], v[4:5], v[4:5] op_sel:[0,1]
.LBB21_38:
	s_or_b64 exec, exec, s[2:3]
	s_waitcnt lgkmcnt(2)
	v_and_b32_e32 v9, 0xff, v7
.LBB21_39:
	s_or_b64 exec, exec, s[0:1]
	s_load_dword s7, s[4:5], 0x40
	s_load_dwordx2 s[2:3], s[4:5], 0x44
	s_branch .LBB21_104
.LBB21_40:
                                        ; implicit-def: $vgpr2_vgpr3
                                        ; implicit-def: $vgpr9
	s_load_dword s7, s[4:5], 0x40
	s_load_dwordx2 s[2:3], s[4:5], 0x44
	s_cbranch_execz .LBB21_104
; %bb.41:
	s_sub_i32 s16, s10, s16
	v_cmp_gt_u32_e32 vcc, s16, v0
	s_waitcnt lgkmcnt(0)
	v_mov_b32_e32 v2, 0
	v_mov_b32_e32 v4, 0
	v_mov_b32_e32 v6, 0
	s_and_saveexec_b64 s[0:1], vcc
	s_cbranch_execz .LBB21_43
; %bb.42:
	global_load_dword v2, v1, s[8:9]
	s_abs_i32 s4, s19
	v_cvt_f32_u32_e32 v3, s4
	v_add_u32_e32 v5, s24, v0
	v_sub_u32_e32 v7, 0, v5
	s_sub_i32 s5, 0, s4
	v_rcp_iflag_f32_e32 v3, v3
	v_ashrrev_i32_e32 v6, 31, v5
	v_max_i32_e32 v5, v5, v7
	v_mul_f32_e32 v3, 0x4f7ffffe, v3
	v_cvt_u32_f32_e32 v3, v3
	v_mul_lo_u32 v7, s5, v3
	v_mul_hi_u32 v7, v3, v7
	v_add_u32_e32 v3, v3, v7
	v_mul_hi_u32 v3, v5, v3
	v_mul_lo_u32 v3, v3, s4
	v_sub_u32_e32 v3, v5, v3
	v_subrev_u32_e32 v5, s4, v3
	v_cmp_le_u32_e32 vcc, s4, v3
	v_cndmask_b32_e32 v3, v3, v5, vcc
	v_subrev_u32_e32 v5, s4, v3
	v_cmp_le_u32_e32 vcc, s4, v3
	v_cndmask_b32_e32 v3, v3, v5, vcc
	v_xor_b32_e32 v3, v3, v6
	v_sub_u32_e32 v3, v3, v6
	v_cmp_gt_i32_e32 vcc, s18, v3
	v_cndmask_b32_e64 v6, 0, 1, vcc
.LBB21_43:
	s_or_b64 exec, exec, s[0:1]
	v_or_b32_e32 v3, 0x100, v0
	v_cmp_gt_u32_e32 vcc, s16, v3
	v_mov_b32_e32 v7, 0
	s_and_saveexec_b64 s[4:5], vcc
	s_cbranch_execz .LBB21_45
; %bb.44:
	global_load_dword v4, v1, s[8:9] offset:1024
	s_abs_i32 s8, s19
	v_cvt_f32_u32_e32 v1, s8
	v_add_u32_e32 v3, s24, v3
	v_sub_u32_e32 v7, 0, v3
	s_sub_i32 s0, 0, s8
	v_rcp_iflag_f32_e32 v1, v1
	v_ashrrev_i32_e32 v5, 31, v3
	v_max_i32_e32 v3, v3, v7
	v_mul_f32_e32 v1, 0x4f7ffffe, v1
	v_cvt_u32_f32_e32 v1, v1
	v_mul_lo_u32 v7, s0, v1
	v_mul_hi_u32 v7, v1, v7
	v_add_u32_e32 v1, v1, v7
	v_mul_hi_u32 v1, v3, v1
	v_mul_lo_u32 v1, v1, s8
	v_sub_u32_e32 v1, v3, v1
	v_subrev_u32_e32 v3, s8, v1
	v_cmp_le_u32_e64 s[0:1], s8, v1
	v_cndmask_b32_e64 v1, v1, v3, s[0:1]
	v_subrev_u32_e32 v3, s8, v1
	v_cmp_le_u32_e64 s[0:1], s8, v1
	v_cndmask_b32_e64 v1, v1, v3, s[0:1]
	v_xor_b32_e32 v1, v1, v5
	v_sub_u32_e32 v1, v1, v5
	v_cmp_gt_i32_e64 s[0:1], s18, v1
	v_cndmask_b32_e64 v7, 0, 1, s[0:1]
.LBB21_45:
	s_or_b64 exec, exec, s[4:5]
	s_waitcnt vmcnt(0)
	v_mov_b32_e32 v3, v2
	s_and_saveexec_b64 s[0:1], vcc
	s_cbranch_execz .LBB21_51
; %bb.46:
	v_and_b32_e32 v1, 1, v6
	v_cmp_eq_u32_e32 vcc, 1, v1
	v_mov_b32_e32 v5, v4
	s_and_saveexec_b64 s[4:5], vcc
	s_cbranch_execz .LBB21_50
; %bb.47:
	v_and_b32_e32 v1, 1, v7
	v_cmp_eq_u32_e32 vcc, 1, v1
	s_and_saveexec_b64 s[8:9], vcc
; %bb.48:
	v_cmp_lt_f32_e32 vcc, v4, v2
	v_cndmask_b32_e32 v8, v2, v4, vcc
	v_cmp_lt_f32_e32 vcc, v2, v4
	v_cndmask_b32_e32 v9, v2, v4, vcc
	v_mov_b32_e32 v6, 1
	v_pk_mov_b32 v[2:3], v[8:9], v[8:9] op_sel:[0,1]
; %bb.49:
	s_or_b64 exec, exec, s[8:9]
	v_pk_mov_b32 v[4:5], v[2:3], v[2:3] op_sel:[0,1]
	v_mov_b32_e32 v7, v6
.LBB21_50:
	s_or_b64 exec, exec, s[4:5]
	v_mov_b32_e32 v6, v7
	v_pk_mov_b32 v[2:3], v[4:5], v[4:5] op_sel:[0,1]
.LBB21_51:
	s_or_b64 exec, exec, s[0:1]
	v_mbcnt_lo_u32_b32 v1, -1, 0
	v_mbcnt_hi_u32_b32 v1, -1, v1
	v_and_b32_e32 v8, 63, v1
	s_min_u32 s16, s16, 0x100
	v_and_b32_e32 v4, 0xc0, v0
	v_cmp_ne_u32_e32 vcc, 63, v8
	v_sub_u32_e64 v7, s16, v4 clamp
	v_addc_co_u32_e32 v4, vcc, 0, v1, vcc
	v_and_b32_e32 v9, 0xffff, v6
	v_lshlrev_b32_e32 v5, 2, v4
	ds_bpermute_b32 v12, v5, v9
	ds_bpermute_b32 v4, v5, v2
	;; [unrolled: 1-line block ×3, first 2 shown]
	v_add_u32_e32 v10, 1, v8
	v_cmp_lt_u32_e32 vcc, v10, v7
	v_mov_b32_e32 v10, v2
	v_mov_b32_e32 v11, v3
	s_and_saveexec_b64 s[0:1], vcc
	s_cbranch_execz .LBB21_57
; %bb.52:
	v_and_b32_e32 v9, 1, v6
	v_cmp_eq_u32_e32 vcc, 1, v9
	s_and_saveexec_b64 s[4:5], vcc
	s_cbranch_execz .LBB21_56
; %bb.53:
	s_waitcnt lgkmcnt(2)
	v_and_b32_e32 v9, 1, v12
	v_cmp_eq_u32_e32 vcc, 1, v9
	s_and_saveexec_b64 s[8:9], vcc
	s_cbranch_execz .LBB21_55
; %bb.54:
	s_waitcnt lgkmcnt(0)
	v_cmp_lt_f32_e32 vcc, v3, v5
	v_cndmask_b32_e32 v3, v3, v5, vcc
	v_cmp_gt_f32_e32 vcc, v2, v4
	v_cndmask_b32_e32 v2, v2, v4, vcc
	v_mov_b32_e32 v6, 1
.LBB21_55:
	s_or_b64 exec, exec, s[8:9]
	v_mov_b32_e32 v12, v6
	s_waitcnt lgkmcnt(0)
	v_pk_mov_b32 v[4:5], v[2:3], v[2:3] op_sel:[0,1]
.LBB21_56:
	s_or_b64 exec, exec, s[4:5]
	s_waitcnt lgkmcnt(2)
	v_and_b32_e32 v9, 0xff, v12
	s_waitcnt lgkmcnt(0)
	v_pk_mov_b32 v[2:3], v[4:5], v[4:5] op_sel:[0,1]
	v_mov_b32_e32 v6, v12
	v_mov_b32_e32 v10, v4
	;; [unrolled: 1-line block ×3, first 2 shown]
.LBB21_57:
	s_or_b64 exec, exec, s[0:1]
	v_cmp_gt_u32_e32 vcc, 62, v8
	s_waitcnt lgkmcnt(1)
	v_cndmask_b32_e64 v4, 0, 1, vcc
	v_lshlrev_b32_e32 v4, 1, v4
	s_waitcnt lgkmcnt(0)
	v_add_lshl_u32 v5, v4, v1, 2
	ds_bpermute_b32 v12, v5, v9
	ds_bpermute_b32 v4, v5, v10
	;; [unrolled: 1-line block ×3, first 2 shown]
	v_add_u32_e32 v13, 2, v8
	v_cmp_lt_u32_e32 vcc, v13, v7
	s_and_saveexec_b64 s[0:1], vcc
	s_cbranch_execz .LBB21_63
; %bb.58:
	v_and_b32_e32 v9, 1, v6
	v_cmp_eq_u32_e32 vcc, 1, v9
	s_and_saveexec_b64 s[4:5], vcc
	s_cbranch_execz .LBB21_62
; %bb.59:
	s_waitcnt lgkmcnt(2)
	v_and_b32_e32 v9, 1, v12
	v_cmp_eq_u32_e32 vcc, 1, v9
	s_and_saveexec_b64 s[8:9], vcc
	s_cbranch_execz .LBB21_61
; %bb.60:
	s_waitcnt lgkmcnt(0)
	v_cmp_lt_f32_e32 vcc, v3, v5
	v_cndmask_b32_e32 v3, v3, v5, vcc
	v_cmp_lt_f32_e32 vcc, v4, v2
	v_cndmask_b32_e32 v2, v2, v4, vcc
	v_mov_b32_e32 v6, 1
.LBB21_61:
	s_or_b64 exec, exec, s[8:9]
	v_mov_b32_e32 v12, v6
	s_waitcnt lgkmcnt(0)
	v_pk_mov_b32 v[4:5], v[2:3], v[2:3] op_sel:[0,1]
.LBB21_62:
	s_or_b64 exec, exec, s[4:5]
	s_waitcnt lgkmcnt(2)
	v_and_b32_e32 v9, 0xff, v12
	s_waitcnt lgkmcnt(0)
	v_pk_mov_b32 v[2:3], v[4:5], v[4:5] op_sel:[0,1]
	v_mov_b32_e32 v6, v12
	v_mov_b32_e32 v10, v4
	;; [unrolled: 1-line block ×3, first 2 shown]
.LBB21_63:
	s_or_b64 exec, exec, s[0:1]
	v_cmp_gt_u32_e32 vcc, 60, v8
	s_waitcnt lgkmcnt(1)
	v_cndmask_b32_e64 v4, 0, 1, vcc
	v_lshlrev_b32_e32 v4, 2, v4
	s_waitcnt lgkmcnt(0)
	v_add_lshl_u32 v5, v4, v1, 2
	ds_bpermute_b32 v12, v5, v9
	ds_bpermute_b32 v4, v5, v10
	;; [unrolled: 1-line block ×3, first 2 shown]
	v_add_u32_e32 v13, 4, v8
	v_cmp_lt_u32_e32 vcc, v13, v7
	s_and_saveexec_b64 s[0:1], vcc
	s_cbranch_execz .LBB21_69
; %bb.64:
	v_and_b32_e32 v9, 1, v6
	v_cmp_eq_u32_e32 vcc, 1, v9
	s_and_saveexec_b64 s[4:5], vcc
	s_cbranch_execz .LBB21_68
; %bb.65:
	s_waitcnt lgkmcnt(2)
	v_and_b32_e32 v9, 1, v12
	v_cmp_eq_u32_e32 vcc, 1, v9
	s_and_saveexec_b64 s[8:9], vcc
	s_cbranch_execz .LBB21_67
; %bb.66:
	s_waitcnt lgkmcnt(0)
	v_cmp_lt_f32_e32 vcc, v3, v5
	v_cndmask_b32_e32 v3, v3, v5, vcc
	v_cmp_lt_f32_e32 vcc, v4, v2
	v_cndmask_b32_e32 v2, v2, v4, vcc
	v_mov_b32_e32 v6, 1
.LBB21_67:
	s_or_b64 exec, exec, s[8:9]
	v_mov_b32_e32 v12, v6
	s_waitcnt lgkmcnt(0)
	v_pk_mov_b32 v[4:5], v[2:3], v[2:3] op_sel:[0,1]
.LBB21_68:
	s_or_b64 exec, exec, s[4:5]
	s_waitcnt lgkmcnt(2)
	v_and_b32_e32 v9, 0xff, v12
	s_waitcnt lgkmcnt(0)
	v_pk_mov_b32 v[2:3], v[4:5], v[4:5] op_sel:[0,1]
	v_mov_b32_e32 v6, v12
	v_mov_b32_e32 v10, v4
	;; [unrolled: 1-line block ×3, first 2 shown]
.LBB21_69:
	s_or_b64 exec, exec, s[0:1]
	v_cmp_gt_u32_e32 vcc, 56, v8
	s_waitcnt lgkmcnt(1)
	v_cndmask_b32_e64 v4, 0, 1, vcc
	v_lshlrev_b32_e32 v4, 3, v4
	s_waitcnt lgkmcnt(0)
	v_add_lshl_u32 v5, v4, v1, 2
	ds_bpermute_b32 v12, v5, v9
	ds_bpermute_b32 v4, v5, v10
	;; [unrolled: 1-line block ×3, first 2 shown]
	v_add_u32_e32 v13, 8, v8
	v_cmp_lt_u32_e32 vcc, v13, v7
	s_and_saveexec_b64 s[0:1], vcc
	s_cbranch_execz .LBB21_75
; %bb.70:
	v_and_b32_e32 v9, 1, v6
	v_cmp_eq_u32_e32 vcc, 1, v9
	s_and_saveexec_b64 s[4:5], vcc
	s_cbranch_execz .LBB21_74
; %bb.71:
	s_waitcnt lgkmcnt(2)
	v_and_b32_e32 v9, 1, v12
	v_cmp_eq_u32_e32 vcc, 1, v9
	s_and_saveexec_b64 s[8:9], vcc
	s_cbranch_execz .LBB21_73
; %bb.72:
	s_waitcnt lgkmcnt(0)
	v_cmp_lt_f32_e32 vcc, v3, v5
	v_cndmask_b32_e32 v3, v3, v5, vcc
	v_cmp_gt_f32_e32 vcc, v2, v4
	v_cndmask_b32_e32 v2, v2, v4, vcc
	v_mov_b32_e32 v6, 1
.LBB21_73:
	s_or_b64 exec, exec, s[8:9]
	v_mov_b32_e32 v12, v6
	s_waitcnt lgkmcnt(0)
	v_pk_mov_b32 v[4:5], v[2:3], v[2:3] op_sel:[0,1]
.LBB21_74:
	s_or_b64 exec, exec, s[4:5]
	s_waitcnt lgkmcnt(2)
	v_and_b32_e32 v9, 0xff, v12
	s_waitcnt lgkmcnt(0)
	v_pk_mov_b32 v[2:3], v[4:5], v[4:5] op_sel:[0,1]
	v_mov_b32_e32 v6, v12
	v_mov_b32_e32 v10, v4
	;; [unrolled: 1-line block ×3, first 2 shown]
.LBB21_75:
	s_or_b64 exec, exec, s[0:1]
	v_cmp_gt_u32_e32 vcc, 48, v8
	s_waitcnt lgkmcnt(1)
	v_cndmask_b32_e64 v4, 0, 1, vcc
	v_lshlrev_b32_e32 v4, 4, v4
	s_waitcnt lgkmcnt(0)
	v_add_lshl_u32 v5, v4, v1, 2
	ds_bpermute_b32 v12, v5, v9
	ds_bpermute_b32 v4, v5, v10
	;; [unrolled: 1-line block ×3, first 2 shown]
	v_add_u32_e32 v13, 16, v8
	v_cmp_lt_u32_e32 vcc, v13, v7
	s_and_saveexec_b64 s[0:1], vcc
	s_cbranch_execz .LBB21_81
; %bb.76:
	v_and_b32_e32 v9, 1, v6
	v_cmp_eq_u32_e32 vcc, 1, v9
	s_and_saveexec_b64 s[4:5], vcc
	s_cbranch_execz .LBB21_80
; %bb.77:
	s_waitcnt lgkmcnt(2)
	v_and_b32_e32 v9, 1, v12
	v_cmp_eq_u32_e32 vcc, 1, v9
	s_and_saveexec_b64 s[8:9], vcc
	s_cbranch_execz .LBB21_79
; %bb.78:
	s_waitcnt lgkmcnt(0)
	v_cmp_gt_f32_e32 vcc, v5, v3
	v_cndmask_b32_e32 v3, v3, v5, vcc
	v_cmp_gt_f32_e32 vcc, v2, v4
	v_cndmask_b32_e32 v2, v2, v4, vcc
	v_mov_b32_e32 v6, 1
.LBB21_79:
	s_or_b64 exec, exec, s[8:9]
	v_mov_b32_e32 v12, v6
	s_waitcnt lgkmcnt(0)
	v_pk_mov_b32 v[4:5], v[2:3], v[2:3] op_sel:[0,1]
.LBB21_80:
	s_or_b64 exec, exec, s[4:5]
	s_waitcnt lgkmcnt(2)
	v_and_b32_e32 v9, 0xff, v12
	s_waitcnt lgkmcnt(0)
	v_pk_mov_b32 v[2:3], v[4:5], v[4:5] op_sel:[0,1]
	v_mov_b32_e32 v6, v12
	v_mov_b32_e32 v10, v4
	;; [unrolled: 1-line block ×3, first 2 shown]
.LBB21_81:
	s_or_b64 exec, exec, s[0:1]
	v_cmp_gt_u32_e32 vcc, 32, v8
	s_waitcnt lgkmcnt(1)
	v_cndmask_b32_e64 v4, 0, 1, vcc
	v_lshlrev_b32_e32 v4, 5, v4
	s_waitcnt lgkmcnt(0)
	v_add_lshl_u32 v5, v4, v1, 2
	ds_bpermute_b32 v12, v5, v9
	ds_bpermute_b32 v4, v5, v10
	ds_bpermute_b32 v5, v5, v11
	v_add_u32_e32 v8, 32, v8
	v_cmp_lt_u32_e32 vcc, v8, v7
	s_and_saveexec_b64 s[0:1], vcc
	s_cbranch_execz .LBB21_87
; %bb.82:
	v_and_b32_e32 v7, 1, v6
	v_cmp_eq_u32_e32 vcc, 1, v7
	s_and_saveexec_b64 s[4:5], vcc
	s_cbranch_execz .LBB21_86
; %bb.83:
	s_waitcnt lgkmcnt(2)
	v_and_b32_e32 v7, 1, v12
	v_cmp_eq_u32_e32 vcc, 1, v7
	s_and_saveexec_b64 s[8:9], vcc
	s_cbranch_execz .LBB21_85
; %bb.84:
	s_waitcnt lgkmcnt(0)
	v_cmp_gt_f32_e32 vcc, v5, v3
	v_cndmask_b32_e32 v3, v3, v5, vcc
	v_cmp_gt_f32_e32 vcc, v2, v4
	v_cndmask_b32_e32 v2, v2, v4, vcc
	v_mov_b32_e32 v6, 1
.LBB21_85:
	s_or_b64 exec, exec, s[8:9]
	v_mov_b32_e32 v12, v6
	s_waitcnt lgkmcnt(0)
	v_pk_mov_b32 v[4:5], v[2:3], v[2:3] op_sel:[0,1]
.LBB21_86:
	s_or_b64 exec, exec, s[4:5]
	s_waitcnt lgkmcnt(2)
	v_and_b32_e32 v9, 0xff, v12
	s_waitcnt lgkmcnt(0)
	v_pk_mov_b32 v[2:3], v[4:5], v[4:5] op_sel:[0,1]
	v_mov_b32_e32 v6, v12
.LBB21_87:
	s_or_b64 exec, exec, s[0:1]
	v_cmp_eq_u32_e32 vcc, 0, v1
	s_and_saveexec_b64 s[0:1], vcc
	s_cbranch_execz .LBB21_89
; %bb.88:
	s_waitcnt lgkmcnt(1)
	v_lshrrev_b32_e32 v4, 6, v0
	v_mul_u32_u24_e32 v4, 12, v4
	ds_write_b8 v4, v6
	ds_write2_b32 v4, v2, v3 offset0:1 offset1:2
.LBB21_89:
	s_or_b64 exec, exec, s[0:1]
	v_cmp_gt_u32_e32 vcc, 4, v0
	s_waitcnt lgkmcnt(0)
	s_barrier
	s_and_saveexec_b64 s[0:1], vcc
	s_cbranch_execz .LBB21_103
; %bb.90:
	v_mul_u32_u24_e32 v2, 12, v1
	ds_read_u8 v6, v2
	ds_read2_b32 v[2:3], v2 offset0:1 offset1:2
	v_and_b32_e32 v7, 3, v1
	v_cmp_ne_u32_e32 vcc, 3, v7
	v_addc_co_u32_e32 v4, vcc, 0, v1, vcc
	s_waitcnt lgkmcnt(1)
	v_and_b32_e32 v9, 0xff, v6
	v_lshlrev_b32_e32 v5, 2, v4
	ds_bpermute_b32 v8, v5, v9
	s_waitcnt lgkmcnt(1)
	ds_bpermute_b32 v4, v5, v2
	ds_bpermute_b32 v5, v5, v3
	s_add_i32 s16, s16, 63
	s_lshr_b32 s18, s16, 6
	v_add_u32_e32 v10, 1, v7
	v_cmp_gt_u32_e32 vcc, s18, v10
	v_mov_b32_e32 v10, v2
	v_mov_b32_e32 v11, v3
	s_and_saveexec_b64 s[4:5], vcc
	s_cbranch_execz .LBB21_96
; %bb.91:
	v_and_b32_e32 v9, 1, v6
	v_cmp_eq_u32_e32 vcc, 1, v9
	s_and_saveexec_b64 s[8:9], vcc
	s_cbranch_execz .LBB21_95
; %bb.92:
	s_waitcnt lgkmcnt(2)
	v_and_b32_e32 v8, 1, v8
	v_cmp_eq_u32_e32 vcc, 1, v8
	s_and_saveexec_b64 s[16:17], vcc
	s_cbranch_execz .LBB21_94
; %bb.93:
	s_waitcnt lgkmcnt(0)
	v_cmp_gt_f32_e32 vcc, v5, v3
	v_cndmask_b32_e32 v3, v3, v5, vcc
	v_cmp_gt_f32_e32 vcc, v2, v4
	v_cndmask_b32_e32 v2, v2, v4, vcc
	v_mov_b32_e32 v6, 1
.LBB21_94:
	s_or_b64 exec, exec, s[16:17]
	v_mov_b32_e32 v8, v6
	s_waitcnt lgkmcnt(0)
	v_pk_mov_b32 v[4:5], v[2:3], v[2:3] op_sel:[0,1]
.LBB21_95:
	s_or_b64 exec, exec, s[8:9]
	s_waitcnt lgkmcnt(2)
	v_and_b32_e32 v9, 0xff, v8
	s_waitcnt lgkmcnt(0)
	v_pk_mov_b32 v[2:3], v[4:5], v[4:5] op_sel:[0,1]
	v_mov_b32_e32 v6, v8
	v_mov_b32_e32 v10, v4
	v_mov_b32_e32 v11, v5
.LBB21_96:
	s_or_b64 exec, exec, s[4:5]
	v_cmp_gt_u32_e32 vcc, 2, v7
	s_waitcnt lgkmcnt(1)
	v_cndmask_b32_e64 v4, 0, 1, vcc
	v_lshlrev_b32_e32 v4, 1, v4
	s_waitcnt lgkmcnt(0)
	v_add_lshl_u32 v5, v4, v1, 2
	ds_bpermute_b32 v1, v5, v9
	ds_bpermute_b32 v4, v5, v10
	;; [unrolled: 1-line block ×3, first 2 shown]
	v_add_u32_e32 v7, 2, v7
	v_cmp_gt_u32_e32 vcc, s18, v7
	s_and_saveexec_b64 s[4:5], vcc
	s_cbranch_execz .LBB21_102
; %bb.97:
	v_and_b32_e32 v7, 1, v6
	v_cmp_eq_u32_e32 vcc, 1, v7
	s_and_saveexec_b64 s[8:9], vcc
	s_cbranch_execz .LBB21_101
; %bb.98:
	s_waitcnt lgkmcnt(2)
	v_and_b32_e32 v1, 1, v1
	v_cmp_eq_u32_e32 vcc, 1, v1
	s_and_saveexec_b64 s[16:17], vcc
	s_cbranch_execz .LBB21_100
; %bb.99:
	s_waitcnt lgkmcnt(0)
	v_cmp_gt_f32_e32 vcc, v5, v3
	v_cndmask_b32_e32 v3, v3, v5, vcc
	v_cmp_gt_f32_e32 vcc, v2, v4
	v_cndmask_b32_e32 v2, v2, v4, vcc
	v_mov_b32_e32 v6, 1
.LBB21_100:
	s_or_b64 exec, exec, s[16:17]
	v_mov_b32_e32 v1, v6
	s_waitcnt lgkmcnt(0)
	v_pk_mov_b32 v[4:5], v[2:3], v[2:3] op_sel:[0,1]
.LBB21_101:
	s_or_b64 exec, exec, s[8:9]
	s_waitcnt lgkmcnt(2)
	v_and_b32_e32 v9, 0xff, v1
	s_waitcnt lgkmcnt(0)
	v_pk_mov_b32 v[2:3], v[4:5], v[4:5] op_sel:[0,1]
.LBB21_102:
	s_or_b64 exec, exec, s[4:5]
.LBB21_103:
	s_or_b64 exec, exec, s[0:1]
.LBB21_104:
	v_cmp_eq_u32_e32 vcc, 0, v0
	s_and_saveexec_b64 s[0:1], vcc
	s_cbranch_execnz .LBB21_106
; %bb.105:
	s_endpgm
.LBB21_106:
	s_mul_i32 s0, s20, s15
	s_mul_hi_u32 s1, s20, s14
	s_add_i32 s0, s1, s0
	s_mul_i32 s1, s21, s14
	s_add_i32 s0, s0, s1
	s_mul_i32 s1, s20, s14
	s_mul_i32 s0, s0, 12
	s_mul_hi_u32 s4, s1, 12
	s_add_i32 s4, s4, s0
	s_mul_i32 s1, s1, 12
	s_add_u32 s0, s12, s1
	s_addc_u32 s1, s13, s4
	s_cmp_eq_u64 s[10:11], 0
	s_mul_i32 s5, s6, 12
	s_waitcnt lgkmcnt(0)
	v_mov_b32_e32 v0, s7
	s_cselect_b64 vcc, -1, 0
	s_mul_hi_u32 s4, s6, 12
	s_add_u32 s0, s0, s5
	v_cndmask_b32_e32 v0, v9, v0, vcc
	s_addc_u32 s1, s1, s4
	v_mov_b32_e32 v4, 0
	global_store_byte v4, v0, s[0:1]
	v_mov_b32_e32 v0, s3
	v_cndmask_b32_e32 v1, v3, v0, vcc
	v_mov_b32_e32 v0, s2
	v_cndmask_b32_e32 v0, v2, v0, vcc
	global_store_dwordx2 v4, v[0:1], s[0:1] offset:4
	s_endpgm
	.section	.rodata,"a",@progbits
	.p2align	6, 0x0
	.amdhsa_kernel _ZN7rocprim17ROCPRIM_400000_NS6detail17trampoline_kernelINS0_14default_configENS1_22reduce_config_selectorIN6thrust23THRUST_200600_302600_NS5tupleIbffNS6_9null_typeES8_S8_S8_S8_S8_S8_EEEEZNS1_11reduce_implILb1ES3_NS6_11hip_rocprim26transform_input_iterator_tIS9_NS6_12zip_iteratorINS7_INS6_17counting_iteratorIiNS6_11use_defaultESG_SG_EENS6_6detail15normal_iteratorINS6_10device_ptrIfEEEES8_S8_S8_S8_S8_S8_S8_S8_EEEE15transform_tupleIifEEEPS9_S9_12reduce_tupleIifEEE10hipError_tPvRmT1_T2_T3_mT4_P12ihipStream_tbEUlT_E0_NS1_11comp_targetILNS1_3genE4ELNS1_11target_archE910ELNS1_3gpuE8ELNS1_3repE0EEENS1_30default_config_static_selectorELNS0_4arch9wavefront6targetE1EEEvSY_
		.amdhsa_group_segment_fixed_size 96
		.amdhsa_private_segment_fixed_size 0
		.amdhsa_kernarg_size 80
		.amdhsa_user_sgpr_count 6
		.amdhsa_user_sgpr_private_segment_buffer 1
		.amdhsa_user_sgpr_dispatch_ptr 0
		.amdhsa_user_sgpr_queue_ptr 0
		.amdhsa_user_sgpr_kernarg_segment_ptr 1
		.amdhsa_user_sgpr_dispatch_id 0
		.amdhsa_user_sgpr_flat_scratch_init 0
		.amdhsa_user_sgpr_kernarg_preload_length 0
		.amdhsa_user_sgpr_kernarg_preload_offset 0
		.amdhsa_user_sgpr_private_segment_size 0
		.amdhsa_uses_dynamic_stack 0
		.amdhsa_system_sgpr_private_segment_wavefront_offset 0
		.amdhsa_system_sgpr_workgroup_id_x 1
		.amdhsa_system_sgpr_workgroup_id_y 0
		.amdhsa_system_sgpr_workgroup_id_z 0
		.amdhsa_system_sgpr_workgroup_info 0
		.amdhsa_system_vgpr_workitem_id 0
		.amdhsa_next_free_vgpr 14
		.amdhsa_next_free_sgpr 25
		.amdhsa_accum_offset 16
		.amdhsa_reserve_vcc 1
		.amdhsa_reserve_flat_scratch 0
		.amdhsa_float_round_mode_32 0
		.amdhsa_float_round_mode_16_64 0
		.amdhsa_float_denorm_mode_32 3
		.amdhsa_float_denorm_mode_16_64 3
		.amdhsa_dx10_clamp 1
		.amdhsa_ieee_mode 1
		.amdhsa_fp16_overflow 0
		.amdhsa_tg_split 0
		.amdhsa_exception_fp_ieee_invalid_op 0
		.amdhsa_exception_fp_denorm_src 0
		.amdhsa_exception_fp_ieee_div_zero 0
		.amdhsa_exception_fp_ieee_overflow 0
		.amdhsa_exception_fp_ieee_underflow 0
		.amdhsa_exception_fp_ieee_inexact 0
		.amdhsa_exception_int_div_zero 0
	.end_amdhsa_kernel
	.section	.text._ZN7rocprim17ROCPRIM_400000_NS6detail17trampoline_kernelINS0_14default_configENS1_22reduce_config_selectorIN6thrust23THRUST_200600_302600_NS5tupleIbffNS6_9null_typeES8_S8_S8_S8_S8_S8_EEEEZNS1_11reduce_implILb1ES3_NS6_11hip_rocprim26transform_input_iterator_tIS9_NS6_12zip_iteratorINS7_INS6_17counting_iteratorIiNS6_11use_defaultESG_SG_EENS6_6detail15normal_iteratorINS6_10device_ptrIfEEEES8_S8_S8_S8_S8_S8_S8_S8_EEEE15transform_tupleIifEEEPS9_S9_12reduce_tupleIifEEE10hipError_tPvRmT1_T2_T3_mT4_P12ihipStream_tbEUlT_E0_NS1_11comp_targetILNS1_3genE4ELNS1_11target_archE910ELNS1_3gpuE8ELNS1_3repE0EEENS1_30default_config_static_selectorELNS0_4arch9wavefront6targetE1EEEvSY_,"axG",@progbits,_ZN7rocprim17ROCPRIM_400000_NS6detail17trampoline_kernelINS0_14default_configENS1_22reduce_config_selectorIN6thrust23THRUST_200600_302600_NS5tupleIbffNS6_9null_typeES8_S8_S8_S8_S8_S8_EEEEZNS1_11reduce_implILb1ES3_NS6_11hip_rocprim26transform_input_iterator_tIS9_NS6_12zip_iteratorINS7_INS6_17counting_iteratorIiNS6_11use_defaultESG_SG_EENS6_6detail15normal_iteratorINS6_10device_ptrIfEEEES8_S8_S8_S8_S8_S8_S8_S8_EEEE15transform_tupleIifEEEPS9_S9_12reduce_tupleIifEEE10hipError_tPvRmT1_T2_T3_mT4_P12ihipStream_tbEUlT_E0_NS1_11comp_targetILNS1_3genE4ELNS1_11target_archE910ELNS1_3gpuE8ELNS1_3repE0EEENS1_30default_config_static_selectorELNS0_4arch9wavefront6targetE1EEEvSY_,comdat
.Lfunc_end21:
	.size	_ZN7rocprim17ROCPRIM_400000_NS6detail17trampoline_kernelINS0_14default_configENS1_22reduce_config_selectorIN6thrust23THRUST_200600_302600_NS5tupleIbffNS6_9null_typeES8_S8_S8_S8_S8_S8_EEEEZNS1_11reduce_implILb1ES3_NS6_11hip_rocprim26transform_input_iterator_tIS9_NS6_12zip_iteratorINS7_INS6_17counting_iteratorIiNS6_11use_defaultESG_SG_EENS6_6detail15normal_iteratorINS6_10device_ptrIfEEEES8_S8_S8_S8_S8_S8_S8_S8_EEEE15transform_tupleIifEEEPS9_S9_12reduce_tupleIifEEE10hipError_tPvRmT1_T2_T3_mT4_P12ihipStream_tbEUlT_E0_NS1_11comp_targetILNS1_3genE4ELNS1_11target_archE910ELNS1_3gpuE8ELNS1_3repE0EEENS1_30default_config_static_selectorELNS0_4arch9wavefront6targetE1EEEvSY_, .Lfunc_end21-_ZN7rocprim17ROCPRIM_400000_NS6detail17trampoline_kernelINS0_14default_configENS1_22reduce_config_selectorIN6thrust23THRUST_200600_302600_NS5tupleIbffNS6_9null_typeES8_S8_S8_S8_S8_S8_EEEEZNS1_11reduce_implILb1ES3_NS6_11hip_rocprim26transform_input_iterator_tIS9_NS6_12zip_iteratorINS7_INS6_17counting_iteratorIiNS6_11use_defaultESG_SG_EENS6_6detail15normal_iteratorINS6_10device_ptrIfEEEES8_S8_S8_S8_S8_S8_S8_S8_EEEE15transform_tupleIifEEEPS9_S9_12reduce_tupleIifEEE10hipError_tPvRmT1_T2_T3_mT4_P12ihipStream_tbEUlT_E0_NS1_11comp_targetILNS1_3genE4ELNS1_11target_archE910ELNS1_3gpuE8ELNS1_3repE0EEENS1_30default_config_static_selectorELNS0_4arch9wavefront6targetE1EEEvSY_
                                        ; -- End function
	.section	.AMDGPU.csdata,"",@progbits
; Kernel info:
; codeLenInByte = 3832
; NumSgprs: 29
; NumVgprs: 14
; NumAgprs: 0
; TotalNumVgprs: 14
; ScratchSize: 0
; MemoryBound: 0
; FloatMode: 240
; IeeeMode: 1
; LDSByteSize: 96 bytes/workgroup (compile time only)
; SGPRBlocks: 3
; VGPRBlocks: 1
; NumSGPRsForWavesPerEU: 29
; NumVGPRsForWavesPerEU: 14
; AccumOffset: 16
; Occupancy: 8
; WaveLimiterHint : 0
; COMPUTE_PGM_RSRC2:SCRATCH_EN: 0
; COMPUTE_PGM_RSRC2:USER_SGPR: 6
; COMPUTE_PGM_RSRC2:TRAP_HANDLER: 0
; COMPUTE_PGM_RSRC2:TGID_X_EN: 1
; COMPUTE_PGM_RSRC2:TGID_Y_EN: 0
; COMPUTE_PGM_RSRC2:TGID_Z_EN: 0
; COMPUTE_PGM_RSRC2:TIDIG_COMP_CNT: 0
; COMPUTE_PGM_RSRC3_GFX90A:ACCUM_OFFSET: 3
; COMPUTE_PGM_RSRC3_GFX90A:TG_SPLIT: 0
	.section	.text._ZN7rocprim17ROCPRIM_400000_NS6detail17trampoline_kernelINS0_14default_configENS1_22reduce_config_selectorIN6thrust23THRUST_200600_302600_NS5tupleIbffNS6_9null_typeES8_S8_S8_S8_S8_S8_EEEEZNS1_11reduce_implILb1ES3_NS6_11hip_rocprim26transform_input_iterator_tIS9_NS6_12zip_iteratorINS7_INS6_17counting_iteratorIiNS6_11use_defaultESG_SG_EENS6_6detail15normal_iteratorINS6_10device_ptrIfEEEES8_S8_S8_S8_S8_S8_S8_S8_EEEE15transform_tupleIifEEEPS9_S9_12reduce_tupleIifEEE10hipError_tPvRmT1_T2_T3_mT4_P12ihipStream_tbEUlT_E0_NS1_11comp_targetILNS1_3genE3ELNS1_11target_archE908ELNS1_3gpuE7ELNS1_3repE0EEENS1_30default_config_static_selectorELNS0_4arch9wavefront6targetE1EEEvSY_,"axG",@progbits,_ZN7rocprim17ROCPRIM_400000_NS6detail17trampoline_kernelINS0_14default_configENS1_22reduce_config_selectorIN6thrust23THRUST_200600_302600_NS5tupleIbffNS6_9null_typeES8_S8_S8_S8_S8_S8_EEEEZNS1_11reduce_implILb1ES3_NS6_11hip_rocprim26transform_input_iterator_tIS9_NS6_12zip_iteratorINS7_INS6_17counting_iteratorIiNS6_11use_defaultESG_SG_EENS6_6detail15normal_iteratorINS6_10device_ptrIfEEEES8_S8_S8_S8_S8_S8_S8_S8_EEEE15transform_tupleIifEEEPS9_S9_12reduce_tupleIifEEE10hipError_tPvRmT1_T2_T3_mT4_P12ihipStream_tbEUlT_E0_NS1_11comp_targetILNS1_3genE3ELNS1_11target_archE908ELNS1_3gpuE7ELNS1_3repE0EEENS1_30default_config_static_selectorELNS0_4arch9wavefront6targetE1EEEvSY_,comdat
	.protected	_ZN7rocprim17ROCPRIM_400000_NS6detail17trampoline_kernelINS0_14default_configENS1_22reduce_config_selectorIN6thrust23THRUST_200600_302600_NS5tupleIbffNS6_9null_typeES8_S8_S8_S8_S8_S8_EEEEZNS1_11reduce_implILb1ES3_NS6_11hip_rocprim26transform_input_iterator_tIS9_NS6_12zip_iteratorINS7_INS6_17counting_iteratorIiNS6_11use_defaultESG_SG_EENS6_6detail15normal_iteratorINS6_10device_ptrIfEEEES8_S8_S8_S8_S8_S8_S8_S8_EEEE15transform_tupleIifEEEPS9_S9_12reduce_tupleIifEEE10hipError_tPvRmT1_T2_T3_mT4_P12ihipStream_tbEUlT_E0_NS1_11comp_targetILNS1_3genE3ELNS1_11target_archE908ELNS1_3gpuE7ELNS1_3repE0EEENS1_30default_config_static_selectorELNS0_4arch9wavefront6targetE1EEEvSY_ ; -- Begin function _ZN7rocprim17ROCPRIM_400000_NS6detail17trampoline_kernelINS0_14default_configENS1_22reduce_config_selectorIN6thrust23THRUST_200600_302600_NS5tupleIbffNS6_9null_typeES8_S8_S8_S8_S8_S8_EEEEZNS1_11reduce_implILb1ES3_NS6_11hip_rocprim26transform_input_iterator_tIS9_NS6_12zip_iteratorINS7_INS6_17counting_iteratorIiNS6_11use_defaultESG_SG_EENS6_6detail15normal_iteratorINS6_10device_ptrIfEEEES8_S8_S8_S8_S8_S8_S8_S8_EEEE15transform_tupleIifEEEPS9_S9_12reduce_tupleIifEEE10hipError_tPvRmT1_T2_T3_mT4_P12ihipStream_tbEUlT_E0_NS1_11comp_targetILNS1_3genE3ELNS1_11target_archE908ELNS1_3gpuE7ELNS1_3repE0EEENS1_30default_config_static_selectorELNS0_4arch9wavefront6targetE1EEEvSY_
	.globl	_ZN7rocprim17ROCPRIM_400000_NS6detail17trampoline_kernelINS0_14default_configENS1_22reduce_config_selectorIN6thrust23THRUST_200600_302600_NS5tupleIbffNS6_9null_typeES8_S8_S8_S8_S8_S8_EEEEZNS1_11reduce_implILb1ES3_NS6_11hip_rocprim26transform_input_iterator_tIS9_NS6_12zip_iteratorINS7_INS6_17counting_iteratorIiNS6_11use_defaultESG_SG_EENS6_6detail15normal_iteratorINS6_10device_ptrIfEEEES8_S8_S8_S8_S8_S8_S8_S8_EEEE15transform_tupleIifEEEPS9_S9_12reduce_tupleIifEEE10hipError_tPvRmT1_T2_T3_mT4_P12ihipStream_tbEUlT_E0_NS1_11comp_targetILNS1_3genE3ELNS1_11target_archE908ELNS1_3gpuE7ELNS1_3repE0EEENS1_30default_config_static_selectorELNS0_4arch9wavefront6targetE1EEEvSY_
	.p2align	8
	.type	_ZN7rocprim17ROCPRIM_400000_NS6detail17trampoline_kernelINS0_14default_configENS1_22reduce_config_selectorIN6thrust23THRUST_200600_302600_NS5tupleIbffNS6_9null_typeES8_S8_S8_S8_S8_S8_EEEEZNS1_11reduce_implILb1ES3_NS6_11hip_rocprim26transform_input_iterator_tIS9_NS6_12zip_iteratorINS7_INS6_17counting_iteratorIiNS6_11use_defaultESG_SG_EENS6_6detail15normal_iteratorINS6_10device_ptrIfEEEES8_S8_S8_S8_S8_S8_S8_S8_EEEE15transform_tupleIifEEEPS9_S9_12reduce_tupleIifEEE10hipError_tPvRmT1_T2_T3_mT4_P12ihipStream_tbEUlT_E0_NS1_11comp_targetILNS1_3genE3ELNS1_11target_archE908ELNS1_3gpuE7ELNS1_3repE0EEENS1_30default_config_static_selectorELNS0_4arch9wavefront6targetE1EEEvSY_,@function
_ZN7rocprim17ROCPRIM_400000_NS6detail17trampoline_kernelINS0_14default_configENS1_22reduce_config_selectorIN6thrust23THRUST_200600_302600_NS5tupleIbffNS6_9null_typeES8_S8_S8_S8_S8_S8_EEEEZNS1_11reduce_implILb1ES3_NS6_11hip_rocprim26transform_input_iterator_tIS9_NS6_12zip_iteratorINS7_INS6_17counting_iteratorIiNS6_11use_defaultESG_SG_EENS6_6detail15normal_iteratorINS6_10device_ptrIfEEEES8_S8_S8_S8_S8_S8_S8_S8_EEEE15transform_tupleIifEEEPS9_S9_12reduce_tupleIifEEE10hipError_tPvRmT1_T2_T3_mT4_P12ihipStream_tbEUlT_E0_NS1_11comp_targetILNS1_3genE3ELNS1_11target_archE908ELNS1_3gpuE7ELNS1_3repE0EEENS1_30default_config_static_selectorELNS0_4arch9wavefront6targetE1EEEvSY_: ; @_ZN7rocprim17ROCPRIM_400000_NS6detail17trampoline_kernelINS0_14default_configENS1_22reduce_config_selectorIN6thrust23THRUST_200600_302600_NS5tupleIbffNS6_9null_typeES8_S8_S8_S8_S8_S8_EEEEZNS1_11reduce_implILb1ES3_NS6_11hip_rocprim26transform_input_iterator_tIS9_NS6_12zip_iteratorINS7_INS6_17counting_iteratorIiNS6_11use_defaultESG_SG_EENS6_6detail15normal_iteratorINS6_10device_ptrIfEEEES8_S8_S8_S8_S8_S8_S8_S8_EEEE15transform_tupleIifEEEPS9_S9_12reduce_tupleIifEEE10hipError_tPvRmT1_T2_T3_mT4_P12ihipStream_tbEUlT_E0_NS1_11comp_targetILNS1_3genE3ELNS1_11target_archE908ELNS1_3gpuE7ELNS1_3repE0EEENS1_30default_config_static_selectorELNS0_4arch9wavefront6targetE1EEEvSY_
; %bb.0:
	.section	.rodata,"a",@progbits
	.p2align	6, 0x0
	.amdhsa_kernel _ZN7rocprim17ROCPRIM_400000_NS6detail17trampoline_kernelINS0_14default_configENS1_22reduce_config_selectorIN6thrust23THRUST_200600_302600_NS5tupleIbffNS6_9null_typeES8_S8_S8_S8_S8_S8_EEEEZNS1_11reduce_implILb1ES3_NS6_11hip_rocprim26transform_input_iterator_tIS9_NS6_12zip_iteratorINS7_INS6_17counting_iteratorIiNS6_11use_defaultESG_SG_EENS6_6detail15normal_iteratorINS6_10device_ptrIfEEEES8_S8_S8_S8_S8_S8_S8_S8_EEEE15transform_tupleIifEEEPS9_S9_12reduce_tupleIifEEE10hipError_tPvRmT1_T2_T3_mT4_P12ihipStream_tbEUlT_E0_NS1_11comp_targetILNS1_3genE3ELNS1_11target_archE908ELNS1_3gpuE7ELNS1_3repE0EEENS1_30default_config_static_selectorELNS0_4arch9wavefront6targetE1EEEvSY_
		.amdhsa_group_segment_fixed_size 0
		.amdhsa_private_segment_fixed_size 0
		.amdhsa_kernarg_size 80
		.amdhsa_user_sgpr_count 6
		.amdhsa_user_sgpr_private_segment_buffer 1
		.amdhsa_user_sgpr_dispatch_ptr 0
		.amdhsa_user_sgpr_queue_ptr 0
		.amdhsa_user_sgpr_kernarg_segment_ptr 1
		.amdhsa_user_sgpr_dispatch_id 0
		.amdhsa_user_sgpr_flat_scratch_init 0
		.amdhsa_user_sgpr_kernarg_preload_length 0
		.amdhsa_user_sgpr_kernarg_preload_offset 0
		.amdhsa_user_sgpr_private_segment_size 0
		.amdhsa_uses_dynamic_stack 0
		.amdhsa_system_sgpr_private_segment_wavefront_offset 0
		.amdhsa_system_sgpr_workgroup_id_x 1
		.amdhsa_system_sgpr_workgroup_id_y 0
		.amdhsa_system_sgpr_workgroup_id_z 0
		.amdhsa_system_sgpr_workgroup_info 0
		.amdhsa_system_vgpr_workitem_id 0
		.amdhsa_next_free_vgpr 1
		.amdhsa_next_free_sgpr 0
		.amdhsa_accum_offset 4
		.amdhsa_reserve_vcc 0
		.amdhsa_reserve_flat_scratch 0
		.amdhsa_float_round_mode_32 0
		.amdhsa_float_round_mode_16_64 0
		.amdhsa_float_denorm_mode_32 3
		.amdhsa_float_denorm_mode_16_64 3
		.amdhsa_dx10_clamp 1
		.amdhsa_ieee_mode 1
		.amdhsa_fp16_overflow 0
		.amdhsa_tg_split 0
		.amdhsa_exception_fp_ieee_invalid_op 0
		.amdhsa_exception_fp_denorm_src 0
		.amdhsa_exception_fp_ieee_div_zero 0
		.amdhsa_exception_fp_ieee_overflow 0
		.amdhsa_exception_fp_ieee_underflow 0
		.amdhsa_exception_fp_ieee_inexact 0
		.amdhsa_exception_int_div_zero 0
	.end_amdhsa_kernel
	.section	.text._ZN7rocprim17ROCPRIM_400000_NS6detail17trampoline_kernelINS0_14default_configENS1_22reduce_config_selectorIN6thrust23THRUST_200600_302600_NS5tupleIbffNS6_9null_typeES8_S8_S8_S8_S8_S8_EEEEZNS1_11reduce_implILb1ES3_NS6_11hip_rocprim26transform_input_iterator_tIS9_NS6_12zip_iteratorINS7_INS6_17counting_iteratorIiNS6_11use_defaultESG_SG_EENS6_6detail15normal_iteratorINS6_10device_ptrIfEEEES8_S8_S8_S8_S8_S8_S8_S8_EEEE15transform_tupleIifEEEPS9_S9_12reduce_tupleIifEEE10hipError_tPvRmT1_T2_T3_mT4_P12ihipStream_tbEUlT_E0_NS1_11comp_targetILNS1_3genE3ELNS1_11target_archE908ELNS1_3gpuE7ELNS1_3repE0EEENS1_30default_config_static_selectorELNS0_4arch9wavefront6targetE1EEEvSY_,"axG",@progbits,_ZN7rocprim17ROCPRIM_400000_NS6detail17trampoline_kernelINS0_14default_configENS1_22reduce_config_selectorIN6thrust23THRUST_200600_302600_NS5tupleIbffNS6_9null_typeES8_S8_S8_S8_S8_S8_EEEEZNS1_11reduce_implILb1ES3_NS6_11hip_rocprim26transform_input_iterator_tIS9_NS6_12zip_iteratorINS7_INS6_17counting_iteratorIiNS6_11use_defaultESG_SG_EENS6_6detail15normal_iteratorINS6_10device_ptrIfEEEES8_S8_S8_S8_S8_S8_S8_S8_EEEE15transform_tupleIifEEEPS9_S9_12reduce_tupleIifEEE10hipError_tPvRmT1_T2_T3_mT4_P12ihipStream_tbEUlT_E0_NS1_11comp_targetILNS1_3genE3ELNS1_11target_archE908ELNS1_3gpuE7ELNS1_3repE0EEENS1_30default_config_static_selectorELNS0_4arch9wavefront6targetE1EEEvSY_,comdat
.Lfunc_end22:
	.size	_ZN7rocprim17ROCPRIM_400000_NS6detail17trampoline_kernelINS0_14default_configENS1_22reduce_config_selectorIN6thrust23THRUST_200600_302600_NS5tupleIbffNS6_9null_typeES8_S8_S8_S8_S8_S8_EEEEZNS1_11reduce_implILb1ES3_NS6_11hip_rocprim26transform_input_iterator_tIS9_NS6_12zip_iteratorINS7_INS6_17counting_iteratorIiNS6_11use_defaultESG_SG_EENS6_6detail15normal_iteratorINS6_10device_ptrIfEEEES8_S8_S8_S8_S8_S8_S8_S8_EEEE15transform_tupleIifEEEPS9_S9_12reduce_tupleIifEEE10hipError_tPvRmT1_T2_T3_mT4_P12ihipStream_tbEUlT_E0_NS1_11comp_targetILNS1_3genE3ELNS1_11target_archE908ELNS1_3gpuE7ELNS1_3repE0EEENS1_30default_config_static_selectorELNS0_4arch9wavefront6targetE1EEEvSY_, .Lfunc_end22-_ZN7rocprim17ROCPRIM_400000_NS6detail17trampoline_kernelINS0_14default_configENS1_22reduce_config_selectorIN6thrust23THRUST_200600_302600_NS5tupleIbffNS6_9null_typeES8_S8_S8_S8_S8_S8_EEEEZNS1_11reduce_implILb1ES3_NS6_11hip_rocprim26transform_input_iterator_tIS9_NS6_12zip_iteratorINS7_INS6_17counting_iteratorIiNS6_11use_defaultESG_SG_EENS6_6detail15normal_iteratorINS6_10device_ptrIfEEEES8_S8_S8_S8_S8_S8_S8_S8_EEEE15transform_tupleIifEEEPS9_S9_12reduce_tupleIifEEE10hipError_tPvRmT1_T2_T3_mT4_P12ihipStream_tbEUlT_E0_NS1_11comp_targetILNS1_3genE3ELNS1_11target_archE908ELNS1_3gpuE7ELNS1_3repE0EEENS1_30default_config_static_selectorELNS0_4arch9wavefront6targetE1EEEvSY_
                                        ; -- End function
	.section	.AMDGPU.csdata,"",@progbits
; Kernel info:
; codeLenInByte = 0
; NumSgprs: 4
; NumVgprs: 0
; NumAgprs: 0
; TotalNumVgprs: 0
; ScratchSize: 0
; MemoryBound: 0
; FloatMode: 240
; IeeeMode: 1
; LDSByteSize: 0 bytes/workgroup (compile time only)
; SGPRBlocks: 0
; VGPRBlocks: 0
; NumSGPRsForWavesPerEU: 4
; NumVGPRsForWavesPerEU: 1
; AccumOffset: 4
; Occupancy: 8
; WaveLimiterHint : 0
; COMPUTE_PGM_RSRC2:SCRATCH_EN: 0
; COMPUTE_PGM_RSRC2:USER_SGPR: 6
; COMPUTE_PGM_RSRC2:TRAP_HANDLER: 0
; COMPUTE_PGM_RSRC2:TGID_X_EN: 1
; COMPUTE_PGM_RSRC2:TGID_Y_EN: 0
; COMPUTE_PGM_RSRC2:TGID_Z_EN: 0
; COMPUTE_PGM_RSRC2:TIDIG_COMP_CNT: 0
; COMPUTE_PGM_RSRC3_GFX90A:ACCUM_OFFSET: 0
; COMPUTE_PGM_RSRC3_GFX90A:TG_SPLIT: 0
	.section	.text._ZN7rocprim17ROCPRIM_400000_NS6detail17trampoline_kernelINS0_14default_configENS1_22reduce_config_selectorIN6thrust23THRUST_200600_302600_NS5tupleIbffNS6_9null_typeES8_S8_S8_S8_S8_S8_EEEEZNS1_11reduce_implILb1ES3_NS6_11hip_rocprim26transform_input_iterator_tIS9_NS6_12zip_iteratorINS7_INS6_17counting_iteratorIiNS6_11use_defaultESG_SG_EENS6_6detail15normal_iteratorINS6_10device_ptrIfEEEES8_S8_S8_S8_S8_S8_S8_S8_EEEE15transform_tupleIifEEEPS9_S9_12reduce_tupleIifEEE10hipError_tPvRmT1_T2_T3_mT4_P12ihipStream_tbEUlT_E0_NS1_11comp_targetILNS1_3genE2ELNS1_11target_archE906ELNS1_3gpuE6ELNS1_3repE0EEENS1_30default_config_static_selectorELNS0_4arch9wavefront6targetE1EEEvSY_,"axG",@progbits,_ZN7rocprim17ROCPRIM_400000_NS6detail17trampoline_kernelINS0_14default_configENS1_22reduce_config_selectorIN6thrust23THRUST_200600_302600_NS5tupleIbffNS6_9null_typeES8_S8_S8_S8_S8_S8_EEEEZNS1_11reduce_implILb1ES3_NS6_11hip_rocprim26transform_input_iterator_tIS9_NS6_12zip_iteratorINS7_INS6_17counting_iteratorIiNS6_11use_defaultESG_SG_EENS6_6detail15normal_iteratorINS6_10device_ptrIfEEEES8_S8_S8_S8_S8_S8_S8_S8_EEEE15transform_tupleIifEEEPS9_S9_12reduce_tupleIifEEE10hipError_tPvRmT1_T2_T3_mT4_P12ihipStream_tbEUlT_E0_NS1_11comp_targetILNS1_3genE2ELNS1_11target_archE906ELNS1_3gpuE6ELNS1_3repE0EEENS1_30default_config_static_selectorELNS0_4arch9wavefront6targetE1EEEvSY_,comdat
	.protected	_ZN7rocprim17ROCPRIM_400000_NS6detail17trampoline_kernelINS0_14default_configENS1_22reduce_config_selectorIN6thrust23THRUST_200600_302600_NS5tupleIbffNS6_9null_typeES8_S8_S8_S8_S8_S8_EEEEZNS1_11reduce_implILb1ES3_NS6_11hip_rocprim26transform_input_iterator_tIS9_NS6_12zip_iteratorINS7_INS6_17counting_iteratorIiNS6_11use_defaultESG_SG_EENS6_6detail15normal_iteratorINS6_10device_ptrIfEEEES8_S8_S8_S8_S8_S8_S8_S8_EEEE15transform_tupleIifEEEPS9_S9_12reduce_tupleIifEEE10hipError_tPvRmT1_T2_T3_mT4_P12ihipStream_tbEUlT_E0_NS1_11comp_targetILNS1_3genE2ELNS1_11target_archE906ELNS1_3gpuE6ELNS1_3repE0EEENS1_30default_config_static_selectorELNS0_4arch9wavefront6targetE1EEEvSY_ ; -- Begin function _ZN7rocprim17ROCPRIM_400000_NS6detail17trampoline_kernelINS0_14default_configENS1_22reduce_config_selectorIN6thrust23THRUST_200600_302600_NS5tupleIbffNS6_9null_typeES8_S8_S8_S8_S8_S8_EEEEZNS1_11reduce_implILb1ES3_NS6_11hip_rocprim26transform_input_iterator_tIS9_NS6_12zip_iteratorINS7_INS6_17counting_iteratorIiNS6_11use_defaultESG_SG_EENS6_6detail15normal_iteratorINS6_10device_ptrIfEEEES8_S8_S8_S8_S8_S8_S8_S8_EEEE15transform_tupleIifEEEPS9_S9_12reduce_tupleIifEEE10hipError_tPvRmT1_T2_T3_mT4_P12ihipStream_tbEUlT_E0_NS1_11comp_targetILNS1_3genE2ELNS1_11target_archE906ELNS1_3gpuE6ELNS1_3repE0EEENS1_30default_config_static_selectorELNS0_4arch9wavefront6targetE1EEEvSY_
	.globl	_ZN7rocprim17ROCPRIM_400000_NS6detail17trampoline_kernelINS0_14default_configENS1_22reduce_config_selectorIN6thrust23THRUST_200600_302600_NS5tupleIbffNS6_9null_typeES8_S8_S8_S8_S8_S8_EEEEZNS1_11reduce_implILb1ES3_NS6_11hip_rocprim26transform_input_iterator_tIS9_NS6_12zip_iteratorINS7_INS6_17counting_iteratorIiNS6_11use_defaultESG_SG_EENS6_6detail15normal_iteratorINS6_10device_ptrIfEEEES8_S8_S8_S8_S8_S8_S8_S8_EEEE15transform_tupleIifEEEPS9_S9_12reduce_tupleIifEEE10hipError_tPvRmT1_T2_T3_mT4_P12ihipStream_tbEUlT_E0_NS1_11comp_targetILNS1_3genE2ELNS1_11target_archE906ELNS1_3gpuE6ELNS1_3repE0EEENS1_30default_config_static_selectorELNS0_4arch9wavefront6targetE1EEEvSY_
	.p2align	8
	.type	_ZN7rocprim17ROCPRIM_400000_NS6detail17trampoline_kernelINS0_14default_configENS1_22reduce_config_selectorIN6thrust23THRUST_200600_302600_NS5tupleIbffNS6_9null_typeES8_S8_S8_S8_S8_S8_EEEEZNS1_11reduce_implILb1ES3_NS6_11hip_rocprim26transform_input_iterator_tIS9_NS6_12zip_iteratorINS7_INS6_17counting_iteratorIiNS6_11use_defaultESG_SG_EENS6_6detail15normal_iteratorINS6_10device_ptrIfEEEES8_S8_S8_S8_S8_S8_S8_S8_EEEE15transform_tupleIifEEEPS9_S9_12reduce_tupleIifEEE10hipError_tPvRmT1_T2_T3_mT4_P12ihipStream_tbEUlT_E0_NS1_11comp_targetILNS1_3genE2ELNS1_11target_archE906ELNS1_3gpuE6ELNS1_3repE0EEENS1_30default_config_static_selectorELNS0_4arch9wavefront6targetE1EEEvSY_,@function
_ZN7rocprim17ROCPRIM_400000_NS6detail17trampoline_kernelINS0_14default_configENS1_22reduce_config_selectorIN6thrust23THRUST_200600_302600_NS5tupleIbffNS6_9null_typeES8_S8_S8_S8_S8_S8_EEEEZNS1_11reduce_implILb1ES3_NS6_11hip_rocprim26transform_input_iterator_tIS9_NS6_12zip_iteratorINS7_INS6_17counting_iteratorIiNS6_11use_defaultESG_SG_EENS6_6detail15normal_iteratorINS6_10device_ptrIfEEEES8_S8_S8_S8_S8_S8_S8_S8_EEEE15transform_tupleIifEEEPS9_S9_12reduce_tupleIifEEE10hipError_tPvRmT1_T2_T3_mT4_P12ihipStream_tbEUlT_E0_NS1_11comp_targetILNS1_3genE2ELNS1_11target_archE906ELNS1_3gpuE6ELNS1_3repE0EEENS1_30default_config_static_selectorELNS0_4arch9wavefront6targetE1EEEvSY_: ; @_ZN7rocprim17ROCPRIM_400000_NS6detail17trampoline_kernelINS0_14default_configENS1_22reduce_config_selectorIN6thrust23THRUST_200600_302600_NS5tupleIbffNS6_9null_typeES8_S8_S8_S8_S8_S8_EEEEZNS1_11reduce_implILb1ES3_NS6_11hip_rocprim26transform_input_iterator_tIS9_NS6_12zip_iteratorINS7_INS6_17counting_iteratorIiNS6_11use_defaultESG_SG_EENS6_6detail15normal_iteratorINS6_10device_ptrIfEEEES8_S8_S8_S8_S8_S8_S8_S8_EEEE15transform_tupleIifEEEPS9_S9_12reduce_tupleIifEEE10hipError_tPvRmT1_T2_T3_mT4_P12ihipStream_tbEUlT_E0_NS1_11comp_targetILNS1_3genE2ELNS1_11target_archE906ELNS1_3gpuE6ELNS1_3repE0EEENS1_30default_config_static_selectorELNS0_4arch9wavefront6targetE1EEEvSY_
; %bb.0:
	.section	.rodata,"a",@progbits
	.p2align	6, 0x0
	.amdhsa_kernel _ZN7rocprim17ROCPRIM_400000_NS6detail17trampoline_kernelINS0_14default_configENS1_22reduce_config_selectorIN6thrust23THRUST_200600_302600_NS5tupleIbffNS6_9null_typeES8_S8_S8_S8_S8_S8_EEEEZNS1_11reduce_implILb1ES3_NS6_11hip_rocprim26transform_input_iterator_tIS9_NS6_12zip_iteratorINS7_INS6_17counting_iteratorIiNS6_11use_defaultESG_SG_EENS6_6detail15normal_iteratorINS6_10device_ptrIfEEEES8_S8_S8_S8_S8_S8_S8_S8_EEEE15transform_tupleIifEEEPS9_S9_12reduce_tupleIifEEE10hipError_tPvRmT1_T2_T3_mT4_P12ihipStream_tbEUlT_E0_NS1_11comp_targetILNS1_3genE2ELNS1_11target_archE906ELNS1_3gpuE6ELNS1_3repE0EEENS1_30default_config_static_selectorELNS0_4arch9wavefront6targetE1EEEvSY_
		.amdhsa_group_segment_fixed_size 0
		.amdhsa_private_segment_fixed_size 0
		.amdhsa_kernarg_size 80
		.amdhsa_user_sgpr_count 6
		.amdhsa_user_sgpr_private_segment_buffer 1
		.amdhsa_user_sgpr_dispatch_ptr 0
		.amdhsa_user_sgpr_queue_ptr 0
		.amdhsa_user_sgpr_kernarg_segment_ptr 1
		.amdhsa_user_sgpr_dispatch_id 0
		.amdhsa_user_sgpr_flat_scratch_init 0
		.amdhsa_user_sgpr_kernarg_preload_length 0
		.amdhsa_user_sgpr_kernarg_preload_offset 0
		.amdhsa_user_sgpr_private_segment_size 0
		.amdhsa_uses_dynamic_stack 0
		.amdhsa_system_sgpr_private_segment_wavefront_offset 0
		.amdhsa_system_sgpr_workgroup_id_x 1
		.amdhsa_system_sgpr_workgroup_id_y 0
		.amdhsa_system_sgpr_workgroup_id_z 0
		.amdhsa_system_sgpr_workgroup_info 0
		.amdhsa_system_vgpr_workitem_id 0
		.amdhsa_next_free_vgpr 1
		.amdhsa_next_free_sgpr 0
		.amdhsa_accum_offset 4
		.amdhsa_reserve_vcc 0
		.amdhsa_reserve_flat_scratch 0
		.amdhsa_float_round_mode_32 0
		.amdhsa_float_round_mode_16_64 0
		.amdhsa_float_denorm_mode_32 3
		.amdhsa_float_denorm_mode_16_64 3
		.amdhsa_dx10_clamp 1
		.amdhsa_ieee_mode 1
		.amdhsa_fp16_overflow 0
		.amdhsa_tg_split 0
		.amdhsa_exception_fp_ieee_invalid_op 0
		.amdhsa_exception_fp_denorm_src 0
		.amdhsa_exception_fp_ieee_div_zero 0
		.amdhsa_exception_fp_ieee_overflow 0
		.amdhsa_exception_fp_ieee_underflow 0
		.amdhsa_exception_fp_ieee_inexact 0
		.amdhsa_exception_int_div_zero 0
	.end_amdhsa_kernel
	.section	.text._ZN7rocprim17ROCPRIM_400000_NS6detail17trampoline_kernelINS0_14default_configENS1_22reduce_config_selectorIN6thrust23THRUST_200600_302600_NS5tupleIbffNS6_9null_typeES8_S8_S8_S8_S8_S8_EEEEZNS1_11reduce_implILb1ES3_NS6_11hip_rocprim26transform_input_iterator_tIS9_NS6_12zip_iteratorINS7_INS6_17counting_iteratorIiNS6_11use_defaultESG_SG_EENS6_6detail15normal_iteratorINS6_10device_ptrIfEEEES8_S8_S8_S8_S8_S8_S8_S8_EEEE15transform_tupleIifEEEPS9_S9_12reduce_tupleIifEEE10hipError_tPvRmT1_T2_T3_mT4_P12ihipStream_tbEUlT_E0_NS1_11comp_targetILNS1_3genE2ELNS1_11target_archE906ELNS1_3gpuE6ELNS1_3repE0EEENS1_30default_config_static_selectorELNS0_4arch9wavefront6targetE1EEEvSY_,"axG",@progbits,_ZN7rocprim17ROCPRIM_400000_NS6detail17trampoline_kernelINS0_14default_configENS1_22reduce_config_selectorIN6thrust23THRUST_200600_302600_NS5tupleIbffNS6_9null_typeES8_S8_S8_S8_S8_S8_EEEEZNS1_11reduce_implILb1ES3_NS6_11hip_rocprim26transform_input_iterator_tIS9_NS6_12zip_iteratorINS7_INS6_17counting_iteratorIiNS6_11use_defaultESG_SG_EENS6_6detail15normal_iteratorINS6_10device_ptrIfEEEES8_S8_S8_S8_S8_S8_S8_S8_EEEE15transform_tupleIifEEEPS9_S9_12reduce_tupleIifEEE10hipError_tPvRmT1_T2_T3_mT4_P12ihipStream_tbEUlT_E0_NS1_11comp_targetILNS1_3genE2ELNS1_11target_archE906ELNS1_3gpuE6ELNS1_3repE0EEENS1_30default_config_static_selectorELNS0_4arch9wavefront6targetE1EEEvSY_,comdat
.Lfunc_end23:
	.size	_ZN7rocprim17ROCPRIM_400000_NS6detail17trampoline_kernelINS0_14default_configENS1_22reduce_config_selectorIN6thrust23THRUST_200600_302600_NS5tupleIbffNS6_9null_typeES8_S8_S8_S8_S8_S8_EEEEZNS1_11reduce_implILb1ES3_NS6_11hip_rocprim26transform_input_iterator_tIS9_NS6_12zip_iteratorINS7_INS6_17counting_iteratorIiNS6_11use_defaultESG_SG_EENS6_6detail15normal_iteratorINS6_10device_ptrIfEEEES8_S8_S8_S8_S8_S8_S8_S8_EEEE15transform_tupleIifEEEPS9_S9_12reduce_tupleIifEEE10hipError_tPvRmT1_T2_T3_mT4_P12ihipStream_tbEUlT_E0_NS1_11comp_targetILNS1_3genE2ELNS1_11target_archE906ELNS1_3gpuE6ELNS1_3repE0EEENS1_30default_config_static_selectorELNS0_4arch9wavefront6targetE1EEEvSY_, .Lfunc_end23-_ZN7rocprim17ROCPRIM_400000_NS6detail17trampoline_kernelINS0_14default_configENS1_22reduce_config_selectorIN6thrust23THRUST_200600_302600_NS5tupleIbffNS6_9null_typeES8_S8_S8_S8_S8_S8_EEEEZNS1_11reduce_implILb1ES3_NS6_11hip_rocprim26transform_input_iterator_tIS9_NS6_12zip_iteratorINS7_INS6_17counting_iteratorIiNS6_11use_defaultESG_SG_EENS6_6detail15normal_iteratorINS6_10device_ptrIfEEEES8_S8_S8_S8_S8_S8_S8_S8_EEEE15transform_tupleIifEEEPS9_S9_12reduce_tupleIifEEE10hipError_tPvRmT1_T2_T3_mT4_P12ihipStream_tbEUlT_E0_NS1_11comp_targetILNS1_3genE2ELNS1_11target_archE906ELNS1_3gpuE6ELNS1_3repE0EEENS1_30default_config_static_selectorELNS0_4arch9wavefront6targetE1EEEvSY_
                                        ; -- End function
	.section	.AMDGPU.csdata,"",@progbits
; Kernel info:
; codeLenInByte = 0
; NumSgprs: 4
; NumVgprs: 0
; NumAgprs: 0
; TotalNumVgprs: 0
; ScratchSize: 0
; MemoryBound: 0
; FloatMode: 240
; IeeeMode: 1
; LDSByteSize: 0 bytes/workgroup (compile time only)
; SGPRBlocks: 0
; VGPRBlocks: 0
; NumSGPRsForWavesPerEU: 4
; NumVGPRsForWavesPerEU: 1
; AccumOffset: 4
; Occupancy: 8
; WaveLimiterHint : 0
; COMPUTE_PGM_RSRC2:SCRATCH_EN: 0
; COMPUTE_PGM_RSRC2:USER_SGPR: 6
; COMPUTE_PGM_RSRC2:TRAP_HANDLER: 0
; COMPUTE_PGM_RSRC2:TGID_X_EN: 1
; COMPUTE_PGM_RSRC2:TGID_Y_EN: 0
; COMPUTE_PGM_RSRC2:TGID_Z_EN: 0
; COMPUTE_PGM_RSRC2:TIDIG_COMP_CNT: 0
; COMPUTE_PGM_RSRC3_GFX90A:ACCUM_OFFSET: 0
; COMPUTE_PGM_RSRC3_GFX90A:TG_SPLIT: 0
	.section	.text._ZN7rocprim17ROCPRIM_400000_NS6detail17trampoline_kernelINS0_14default_configENS1_22reduce_config_selectorIN6thrust23THRUST_200600_302600_NS5tupleIbffNS6_9null_typeES8_S8_S8_S8_S8_S8_EEEEZNS1_11reduce_implILb1ES3_NS6_11hip_rocprim26transform_input_iterator_tIS9_NS6_12zip_iteratorINS7_INS6_17counting_iteratorIiNS6_11use_defaultESG_SG_EENS6_6detail15normal_iteratorINS6_10device_ptrIfEEEES8_S8_S8_S8_S8_S8_S8_S8_EEEE15transform_tupleIifEEEPS9_S9_12reduce_tupleIifEEE10hipError_tPvRmT1_T2_T3_mT4_P12ihipStream_tbEUlT_E0_NS1_11comp_targetILNS1_3genE10ELNS1_11target_archE1201ELNS1_3gpuE5ELNS1_3repE0EEENS1_30default_config_static_selectorELNS0_4arch9wavefront6targetE1EEEvSY_,"axG",@progbits,_ZN7rocprim17ROCPRIM_400000_NS6detail17trampoline_kernelINS0_14default_configENS1_22reduce_config_selectorIN6thrust23THRUST_200600_302600_NS5tupleIbffNS6_9null_typeES8_S8_S8_S8_S8_S8_EEEEZNS1_11reduce_implILb1ES3_NS6_11hip_rocprim26transform_input_iterator_tIS9_NS6_12zip_iteratorINS7_INS6_17counting_iteratorIiNS6_11use_defaultESG_SG_EENS6_6detail15normal_iteratorINS6_10device_ptrIfEEEES8_S8_S8_S8_S8_S8_S8_S8_EEEE15transform_tupleIifEEEPS9_S9_12reduce_tupleIifEEE10hipError_tPvRmT1_T2_T3_mT4_P12ihipStream_tbEUlT_E0_NS1_11comp_targetILNS1_3genE10ELNS1_11target_archE1201ELNS1_3gpuE5ELNS1_3repE0EEENS1_30default_config_static_selectorELNS0_4arch9wavefront6targetE1EEEvSY_,comdat
	.protected	_ZN7rocprim17ROCPRIM_400000_NS6detail17trampoline_kernelINS0_14default_configENS1_22reduce_config_selectorIN6thrust23THRUST_200600_302600_NS5tupleIbffNS6_9null_typeES8_S8_S8_S8_S8_S8_EEEEZNS1_11reduce_implILb1ES3_NS6_11hip_rocprim26transform_input_iterator_tIS9_NS6_12zip_iteratorINS7_INS6_17counting_iteratorIiNS6_11use_defaultESG_SG_EENS6_6detail15normal_iteratorINS6_10device_ptrIfEEEES8_S8_S8_S8_S8_S8_S8_S8_EEEE15transform_tupleIifEEEPS9_S9_12reduce_tupleIifEEE10hipError_tPvRmT1_T2_T3_mT4_P12ihipStream_tbEUlT_E0_NS1_11comp_targetILNS1_3genE10ELNS1_11target_archE1201ELNS1_3gpuE5ELNS1_3repE0EEENS1_30default_config_static_selectorELNS0_4arch9wavefront6targetE1EEEvSY_ ; -- Begin function _ZN7rocprim17ROCPRIM_400000_NS6detail17trampoline_kernelINS0_14default_configENS1_22reduce_config_selectorIN6thrust23THRUST_200600_302600_NS5tupleIbffNS6_9null_typeES8_S8_S8_S8_S8_S8_EEEEZNS1_11reduce_implILb1ES3_NS6_11hip_rocprim26transform_input_iterator_tIS9_NS6_12zip_iteratorINS7_INS6_17counting_iteratorIiNS6_11use_defaultESG_SG_EENS6_6detail15normal_iteratorINS6_10device_ptrIfEEEES8_S8_S8_S8_S8_S8_S8_S8_EEEE15transform_tupleIifEEEPS9_S9_12reduce_tupleIifEEE10hipError_tPvRmT1_T2_T3_mT4_P12ihipStream_tbEUlT_E0_NS1_11comp_targetILNS1_3genE10ELNS1_11target_archE1201ELNS1_3gpuE5ELNS1_3repE0EEENS1_30default_config_static_selectorELNS0_4arch9wavefront6targetE1EEEvSY_
	.globl	_ZN7rocprim17ROCPRIM_400000_NS6detail17trampoline_kernelINS0_14default_configENS1_22reduce_config_selectorIN6thrust23THRUST_200600_302600_NS5tupleIbffNS6_9null_typeES8_S8_S8_S8_S8_S8_EEEEZNS1_11reduce_implILb1ES3_NS6_11hip_rocprim26transform_input_iterator_tIS9_NS6_12zip_iteratorINS7_INS6_17counting_iteratorIiNS6_11use_defaultESG_SG_EENS6_6detail15normal_iteratorINS6_10device_ptrIfEEEES8_S8_S8_S8_S8_S8_S8_S8_EEEE15transform_tupleIifEEEPS9_S9_12reduce_tupleIifEEE10hipError_tPvRmT1_T2_T3_mT4_P12ihipStream_tbEUlT_E0_NS1_11comp_targetILNS1_3genE10ELNS1_11target_archE1201ELNS1_3gpuE5ELNS1_3repE0EEENS1_30default_config_static_selectorELNS0_4arch9wavefront6targetE1EEEvSY_
	.p2align	8
	.type	_ZN7rocprim17ROCPRIM_400000_NS6detail17trampoline_kernelINS0_14default_configENS1_22reduce_config_selectorIN6thrust23THRUST_200600_302600_NS5tupleIbffNS6_9null_typeES8_S8_S8_S8_S8_S8_EEEEZNS1_11reduce_implILb1ES3_NS6_11hip_rocprim26transform_input_iterator_tIS9_NS6_12zip_iteratorINS7_INS6_17counting_iteratorIiNS6_11use_defaultESG_SG_EENS6_6detail15normal_iteratorINS6_10device_ptrIfEEEES8_S8_S8_S8_S8_S8_S8_S8_EEEE15transform_tupleIifEEEPS9_S9_12reduce_tupleIifEEE10hipError_tPvRmT1_T2_T3_mT4_P12ihipStream_tbEUlT_E0_NS1_11comp_targetILNS1_3genE10ELNS1_11target_archE1201ELNS1_3gpuE5ELNS1_3repE0EEENS1_30default_config_static_selectorELNS0_4arch9wavefront6targetE1EEEvSY_,@function
_ZN7rocprim17ROCPRIM_400000_NS6detail17trampoline_kernelINS0_14default_configENS1_22reduce_config_selectorIN6thrust23THRUST_200600_302600_NS5tupleIbffNS6_9null_typeES8_S8_S8_S8_S8_S8_EEEEZNS1_11reduce_implILb1ES3_NS6_11hip_rocprim26transform_input_iterator_tIS9_NS6_12zip_iteratorINS7_INS6_17counting_iteratorIiNS6_11use_defaultESG_SG_EENS6_6detail15normal_iteratorINS6_10device_ptrIfEEEES8_S8_S8_S8_S8_S8_S8_S8_EEEE15transform_tupleIifEEEPS9_S9_12reduce_tupleIifEEE10hipError_tPvRmT1_T2_T3_mT4_P12ihipStream_tbEUlT_E0_NS1_11comp_targetILNS1_3genE10ELNS1_11target_archE1201ELNS1_3gpuE5ELNS1_3repE0EEENS1_30default_config_static_selectorELNS0_4arch9wavefront6targetE1EEEvSY_: ; @_ZN7rocprim17ROCPRIM_400000_NS6detail17trampoline_kernelINS0_14default_configENS1_22reduce_config_selectorIN6thrust23THRUST_200600_302600_NS5tupleIbffNS6_9null_typeES8_S8_S8_S8_S8_S8_EEEEZNS1_11reduce_implILb1ES3_NS6_11hip_rocprim26transform_input_iterator_tIS9_NS6_12zip_iteratorINS7_INS6_17counting_iteratorIiNS6_11use_defaultESG_SG_EENS6_6detail15normal_iteratorINS6_10device_ptrIfEEEES8_S8_S8_S8_S8_S8_S8_S8_EEEE15transform_tupleIifEEEPS9_S9_12reduce_tupleIifEEE10hipError_tPvRmT1_T2_T3_mT4_P12ihipStream_tbEUlT_E0_NS1_11comp_targetILNS1_3genE10ELNS1_11target_archE1201ELNS1_3gpuE5ELNS1_3repE0EEENS1_30default_config_static_selectorELNS0_4arch9wavefront6targetE1EEEvSY_
; %bb.0:
	.section	.rodata,"a",@progbits
	.p2align	6, 0x0
	.amdhsa_kernel _ZN7rocprim17ROCPRIM_400000_NS6detail17trampoline_kernelINS0_14default_configENS1_22reduce_config_selectorIN6thrust23THRUST_200600_302600_NS5tupleIbffNS6_9null_typeES8_S8_S8_S8_S8_S8_EEEEZNS1_11reduce_implILb1ES3_NS6_11hip_rocprim26transform_input_iterator_tIS9_NS6_12zip_iteratorINS7_INS6_17counting_iteratorIiNS6_11use_defaultESG_SG_EENS6_6detail15normal_iteratorINS6_10device_ptrIfEEEES8_S8_S8_S8_S8_S8_S8_S8_EEEE15transform_tupleIifEEEPS9_S9_12reduce_tupleIifEEE10hipError_tPvRmT1_T2_T3_mT4_P12ihipStream_tbEUlT_E0_NS1_11comp_targetILNS1_3genE10ELNS1_11target_archE1201ELNS1_3gpuE5ELNS1_3repE0EEENS1_30default_config_static_selectorELNS0_4arch9wavefront6targetE1EEEvSY_
		.amdhsa_group_segment_fixed_size 0
		.amdhsa_private_segment_fixed_size 0
		.amdhsa_kernarg_size 80
		.amdhsa_user_sgpr_count 6
		.amdhsa_user_sgpr_private_segment_buffer 1
		.amdhsa_user_sgpr_dispatch_ptr 0
		.amdhsa_user_sgpr_queue_ptr 0
		.amdhsa_user_sgpr_kernarg_segment_ptr 1
		.amdhsa_user_sgpr_dispatch_id 0
		.amdhsa_user_sgpr_flat_scratch_init 0
		.amdhsa_user_sgpr_kernarg_preload_length 0
		.amdhsa_user_sgpr_kernarg_preload_offset 0
		.amdhsa_user_sgpr_private_segment_size 0
		.amdhsa_uses_dynamic_stack 0
		.amdhsa_system_sgpr_private_segment_wavefront_offset 0
		.amdhsa_system_sgpr_workgroup_id_x 1
		.amdhsa_system_sgpr_workgroup_id_y 0
		.amdhsa_system_sgpr_workgroup_id_z 0
		.amdhsa_system_sgpr_workgroup_info 0
		.amdhsa_system_vgpr_workitem_id 0
		.amdhsa_next_free_vgpr 1
		.amdhsa_next_free_sgpr 0
		.amdhsa_accum_offset 4
		.amdhsa_reserve_vcc 0
		.amdhsa_reserve_flat_scratch 0
		.amdhsa_float_round_mode_32 0
		.amdhsa_float_round_mode_16_64 0
		.amdhsa_float_denorm_mode_32 3
		.amdhsa_float_denorm_mode_16_64 3
		.amdhsa_dx10_clamp 1
		.amdhsa_ieee_mode 1
		.amdhsa_fp16_overflow 0
		.amdhsa_tg_split 0
		.amdhsa_exception_fp_ieee_invalid_op 0
		.amdhsa_exception_fp_denorm_src 0
		.amdhsa_exception_fp_ieee_div_zero 0
		.amdhsa_exception_fp_ieee_overflow 0
		.amdhsa_exception_fp_ieee_underflow 0
		.amdhsa_exception_fp_ieee_inexact 0
		.amdhsa_exception_int_div_zero 0
	.end_amdhsa_kernel
	.section	.text._ZN7rocprim17ROCPRIM_400000_NS6detail17trampoline_kernelINS0_14default_configENS1_22reduce_config_selectorIN6thrust23THRUST_200600_302600_NS5tupleIbffNS6_9null_typeES8_S8_S8_S8_S8_S8_EEEEZNS1_11reduce_implILb1ES3_NS6_11hip_rocprim26transform_input_iterator_tIS9_NS6_12zip_iteratorINS7_INS6_17counting_iteratorIiNS6_11use_defaultESG_SG_EENS6_6detail15normal_iteratorINS6_10device_ptrIfEEEES8_S8_S8_S8_S8_S8_S8_S8_EEEE15transform_tupleIifEEEPS9_S9_12reduce_tupleIifEEE10hipError_tPvRmT1_T2_T3_mT4_P12ihipStream_tbEUlT_E0_NS1_11comp_targetILNS1_3genE10ELNS1_11target_archE1201ELNS1_3gpuE5ELNS1_3repE0EEENS1_30default_config_static_selectorELNS0_4arch9wavefront6targetE1EEEvSY_,"axG",@progbits,_ZN7rocprim17ROCPRIM_400000_NS6detail17trampoline_kernelINS0_14default_configENS1_22reduce_config_selectorIN6thrust23THRUST_200600_302600_NS5tupleIbffNS6_9null_typeES8_S8_S8_S8_S8_S8_EEEEZNS1_11reduce_implILb1ES3_NS6_11hip_rocprim26transform_input_iterator_tIS9_NS6_12zip_iteratorINS7_INS6_17counting_iteratorIiNS6_11use_defaultESG_SG_EENS6_6detail15normal_iteratorINS6_10device_ptrIfEEEES8_S8_S8_S8_S8_S8_S8_S8_EEEE15transform_tupleIifEEEPS9_S9_12reduce_tupleIifEEE10hipError_tPvRmT1_T2_T3_mT4_P12ihipStream_tbEUlT_E0_NS1_11comp_targetILNS1_3genE10ELNS1_11target_archE1201ELNS1_3gpuE5ELNS1_3repE0EEENS1_30default_config_static_selectorELNS0_4arch9wavefront6targetE1EEEvSY_,comdat
.Lfunc_end24:
	.size	_ZN7rocprim17ROCPRIM_400000_NS6detail17trampoline_kernelINS0_14default_configENS1_22reduce_config_selectorIN6thrust23THRUST_200600_302600_NS5tupleIbffNS6_9null_typeES8_S8_S8_S8_S8_S8_EEEEZNS1_11reduce_implILb1ES3_NS6_11hip_rocprim26transform_input_iterator_tIS9_NS6_12zip_iteratorINS7_INS6_17counting_iteratorIiNS6_11use_defaultESG_SG_EENS6_6detail15normal_iteratorINS6_10device_ptrIfEEEES8_S8_S8_S8_S8_S8_S8_S8_EEEE15transform_tupleIifEEEPS9_S9_12reduce_tupleIifEEE10hipError_tPvRmT1_T2_T3_mT4_P12ihipStream_tbEUlT_E0_NS1_11comp_targetILNS1_3genE10ELNS1_11target_archE1201ELNS1_3gpuE5ELNS1_3repE0EEENS1_30default_config_static_selectorELNS0_4arch9wavefront6targetE1EEEvSY_, .Lfunc_end24-_ZN7rocprim17ROCPRIM_400000_NS6detail17trampoline_kernelINS0_14default_configENS1_22reduce_config_selectorIN6thrust23THRUST_200600_302600_NS5tupleIbffNS6_9null_typeES8_S8_S8_S8_S8_S8_EEEEZNS1_11reduce_implILb1ES3_NS6_11hip_rocprim26transform_input_iterator_tIS9_NS6_12zip_iteratorINS7_INS6_17counting_iteratorIiNS6_11use_defaultESG_SG_EENS6_6detail15normal_iteratorINS6_10device_ptrIfEEEES8_S8_S8_S8_S8_S8_S8_S8_EEEE15transform_tupleIifEEEPS9_S9_12reduce_tupleIifEEE10hipError_tPvRmT1_T2_T3_mT4_P12ihipStream_tbEUlT_E0_NS1_11comp_targetILNS1_3genE10ELNS1_11target_archE1201ELNS1_3gpuE5ELNS1_3repE0EEENS1_30default_config_static_selectorELNS0_4arch9wavefront6targetE1EEEvSY_
                                        ; -- End function
	.section	.AMDGPU.csdata,"",@progbits
; Kernel info:
; codeLenInByte = 0
; NumSgprs: 4
; NumVgprs: 0
; NumAgprs: 0
; TotalNumVgprs: 0
; ScratchSize: 0
; MemoryBound: 0
; FloatMode: 240
; IeeeMode: 1
; LDSByteSize: 0 bytes/workgroup (compile time only)
; SGPRBlocks: 0
; VGPRBlocks: 0
; NumSGPRsForWavesPerEU: 4
; NumVGPRsForWavesPerEU: 1
; AccumOffset: 4
; Occupancy: 8
; WaveLimiterHint : 0
; COMPUTE_PGM_RSRC2:SCRATCH_EN: 0
; COMPUTE_PGM_RSRC2:USER_SGPR: 6
; COMPUTE_PGM_RSRC2:TRAP_HANDLER: 0
; COMPUTE_PGM_RSRC2:TGID_X_EN: 1
; COMPUTE_PGM_RSRC2:TGID_Y_EN: 0
; COMPUTE_PGM_RSRC2:TGID_Z_EN: 0
; COMPUTE_PGM_RSRC2:TIDIG_COMP_CNT: 0
; COMPUTE_PGM_RSRC3_GFX90A:ACCUM_OFFSET: 0
; COMPUTE_PGM_RSRC3_GFX90A:TG_SPLIT: 0
	.section	.text._ZN7rocprim17ROCPRIM_400000_NS6detail17trampoline_kernelINS0_14default_configENS1_22reduce_config_selectorIN6thrust23THRUST_200600_302600_NS5tupleIbffNS6_9null_typeES8_S8_S8_S8_S8_S8_EEEEZNS1_11reduce_implILb1ES3_NS6_11hip_rocprim26transform_input_iterator_tIS9_NS6_12zip_iteratorINS7_INS6_17counting_iteratorIiNS6_11use_defaultESG_SG_EENS6_6detail15normal_iteratorINS6_10device_ptrIfEEEES8_S8_S8_S8_S8_S8_S8_S8_EEEE15transform_tupleIifEEEPS9_S9_12reduce_tupleIifEEE10hipError_tPvRmT1_T2_T3_mT4_P12ihipStream_tbEUlT_E0_NS1_11comp_targetILNS1_3genE10ELNS1_11target_archE1200ELNS1_3gpuE4ELNS1_3repE0EEENS1_30default_config_static_selectorELNS0_4arch9wavefront6targetE1EEEvSY_,"axG",@progbits,_ZN7rocprim17ROCPRIM_400000_NS6detail17trampoline_kernelINS0_14default_configENS1_22reduce_config_selectorIN6thrust23THRUST_200600_302600_NS5tupleIbffNS6_9null_typeES8_S8_S8_S8_S8_S8_EEEEZNS1_11reduce_implILb1ES3_NS6_11hip_rocprim26transform_input_iterator_tIS9_NS6_12zip_iteratorINS7_INS6_17counting_iteratorIiNS6_11use_defaultESG_SG_EENS6_6detail15normal_iteratorINS6_10device_ptrIfEEEES8_S8_S8_S8_S8_S8_S8_S8_EEEE15transform_tupleIifEEEPS9_S9_12reduce_tupleIifEEE10hipError_tPvRmT1_T2_T3_mT4_P12ihipStream_tbEUlT_E0_NS1_11comp_targetILNS1_3genE10ELNS1_11target_archE1200ELNS1_3gpuE4ELNS1_3repE0EEENS1_30default_config_static_selectorELNS0_4arch9wavefront6targetE1EEEvSY_,comdat
	.protected	_ZN7rocprim17ROCPRIM_400000_NS6detail17trampoline_kernelINS0_14default_configENS1_22reduce_config_selectorIN6thrust23THRUST_200600_302600_NS5tupleIbffNS6_9null_typeES8_S8_S8_S8_S8_S8_EEEEZNS1_11reduce_implILb1ES3_NS6_11hip_rocprim26transform_input_iterator_tIS9_NS6_12zip_iteratorINS7_INS6_17counting_iteratorIiNS6_11use_defaultESG_SG_EENS6_6detail15normal_iteratorINS6_10device_ptrIfEEEES8_S8_S8_S8_S8_S8_S8_S8_EEEE15transform_tupleIifEEEPS9_S9_12reduce_tupleIifEEE10hipError_tPvRmT1_T2_T3_mT4_P12ihipStream_tbEUlT_E0_NS1_11comp_targetILNS1_3genE10ELNS1_11target_archE1200ELNS1_3gpuE4ELNS1_3repE0EEENS1_30default_config_static_selectorELNS0_4arch9wavefront6targetE1EEEvSY_ ; -- Begin function _ZN7rocprim17ROCPRIM_400000_NS6detail17trampoline_kernelINS0_14default_configENS1_22reduce_config_selectorIN6thrust23THRUST_200600_302600_NS5tupleIbffNS6_9null_typeES8_S8_S8_S8_S8_S8_EEEEZNS1_11reduce_implILb1ES3_NS6_11hip_rocprim26transform_input_iterator_tIS9_NS6_12zip_iteratorINS7_INS6_17counting_iteratorIiNS6_11use_defaultESG_SG_EENS6_6detail15normal_iteratorINS6_10device_ptrIfEEEES8_S8_S8_S8_S8_S8_S8_S8_EEEE15transform_tupleIifEEEPS9_S9_12reduce_tupleIifEEE10hipError_tPvRmT1_T2_T3_mT4_P12ihipStream_tbEUlT_E0_NS1_11comp_targetILNS1_3genE10ELNS1_11target_archE1200ELNS1_3gpuE4ELNS1_3repE0EEENS1_30default_config_static_selectorELNS0_4arch9wavefront6targetE1EEEvSY_
	.globl	_ZN7rocprim17ROCPRIM_400000_NS6detail17trampoline_kernelINS0_14default_configENS1_22reduce_config_selectorIN6thrust23THRUST_200600_302600_NS5tupleIbffNS6_9null_typeES8_S8_S8_S8_S8_S8_EEEEZNS1_11reduce_implILb1ES3_NS6_11hip_rocprim26transform_input_iterator_tIS9_NS6_12zip_iteratorINS7_INS6_17counting_iteratorIiNS6_11use_defaultESG_SG_EENS6_6detail15normal_iteratorINS6_10device_ptrIfEEEES8_S8_S8_S8_S8_S8_S8_S8_EEEE15transform_tupleIifEEEPS9_S9_12reduce_tupleIifEEE10hipError_tPvRmT1_T2_T3_mT4_P12ihipStream_tbEUlT_E0_NS1_11comp_targetILNS1_3genE10ELNS1_11target_archE1200ELNS1_3gpuE4ELNS1_3repE0EEENS1_30default_config_static_selectorELNS0_4arch9wavefront6targetE1EEEvSY_
	.p2align	8
	.type	_ZN7rocprim17ROCPRIM_400000_NS6detail17trampoline_kernelINS0_14default_configENS1_22reduce_config_selectorIN6thrust23THRUST_200600_302600_NS5tupleIbffNS6_9null_typeES8_S8_S8_S8_S8_S8_EEEEZNS1_11reduce_implILb1ES3_NS6_11hip_rocprim26transform_input_iterator_tIS9_NS6_12zip_iteratorINS7_INS6_17counting_iteratorIiNS6_11use_defaultESG_SG_EENS6_6detail15normal_iteratorINS6_10device_ptrIfEEEES8_S8_S8_S8_S8_S8_S8_S8_EEEE15transform_tupleIifEEEPS9_S9_12reduce_tupleIifEEE10hipError_tPvRmT1_T2_T3_mT4_P12ihipStream_tbEUlT_E0_NS1_11comp_targetILNS1_3genE10ELNS1_11target_archE1200ELNS1_3gpuE4ELNS1_3repE0EEENS1_30default_config_static_selectorELNS0_4arch9wavefront6targetE1EEEvSY_,@function
_ZN7rocprim17ROCPRIM_400000_NS6detail17trampoline_kernelINS0_14default_configENS1_22reduce_config_selectorIN6thrust23THRUST_200600_302600_NS5tupleIbffNS6_9null_typeES8_S8_S8_S8_S8_S8_EEEEZNS1_11reduce_implILb1ES3_NS6_11hip_rocprim26transform_input_iterator_tIS9_NS6_12zip_iteratorINS7_INS6_17counting_iteratorIiNS6_11use_defaultESG_SG_EENS6_6detail15normal_iteratorINS6_10device_ptrIfEEEES8_S8_S8_S8_S8_S8_S8_S8_EEEE15transform_tupleIifEEEPS9_S9_12reduce_tupleIifEEE10hipError_tPvRmT1_T2_T3_mT4_P12ihipStream_tbEUlT_E0_NS1_11comp_targetILNS1_3genE10ELNS1_11target_archE1200ELNS1_3gpuE4ELNS1_3repE0EEENS1_30default_config_static_selectorELNS0_4arch9wavefront6targetE1EEEvSY_: ; @_ZN7rocprim17ROCPRIM_400000_NS6detail17trampoline_kernelINS0_14default_configENS1_22reduce_config_selectorIN6thrust23THRUST_200600_302600_NS5tupleIbffNS6_9null_typeES8_S8_S8_S8_S8_S8_EEEEZNS1_11reduce_implILb1ES3_NS6_11hip_rocprim26transform_input_iterator_tIS9_NS6_12zip_iteratorINS7_INS6_17counting_iteratorIiNS6_11use_defaultESG_SG_EENS6_6detail15normal_iteratorINS6_10device_ptrIfEEEES8_S8_S8_S8_S8_S8_S8_S8_EEEE15transform_tupleIifEEEPS9_S9_12reduce_tupleIifEEE10hipError_tPvRmT1_T2_T3_mT4_P12ihipStream_tbEUlT_E0_NS1_11comp_targetILNS1_3genE10ELNS1_11target_archE1200ELNS1_3gpuE4ELNS1_3repE0EEENS1_30default_config_static_selectorELNS0_4arch9wavefront6targetE1EEEvSY_
; %bb.0:
	.section	.rodata,"a",@progbits
	.p2align	6, 0x0
	.amdhsa_kernel _ZN7rocprim17ROCPRIM_400000_NS6detail17trampoline_kernelINS0_14default_configENS1_22reduce_config_selectorIN6thrust23THRUST_200600_302600_NS5tupleIbffNS6_9null_typeES8_S8_S8_S8_S8_S8_EEEEZNS1_11reduce_implILb1ES3_NS6_11hip_rocprim26transform_input_iterator_tIS9_NS6_12zip_iteratorINS7_INS6_17counting_iteratorIiNS6_11use_defaultESG_SG_EENS6_6detail15normal_iteratorINS6_10device_ptrIfEEEES8_S8_S8_S8_S8_S8_S8_S8_EEEE15transform_tupleIifEEEPS9_S9_12reduce_tupleIifEEE10hipError_tPvRmT1_T2_T3_mT4_P12ihipStream_tbEUlT_E0_NS1_11comp_targetILNS1_3genE10ELNS1_11target_archE1200ELNS1_3gpuE4ELNS1_3repE0EEENS1_30default_config_static_selectorELNS0_4arch9wavefront6targetE1EEEvSY_
		.amdhsa_group_segment_fixed_size 0
		.amdhsa_private_segment_fixed_size 0
		.amdhsa_kernarg_size 80
		.amdhsa_user_sgpr_count 6
		.amdhsa_user_sgpr_private_segment_buffer 1
		.amdhsa_user_sgpr_dispatch_ptr 0
		.amdhsa_user_sgpr_queue_ptr 0
		.amdhsa_user_sgpr_kernarg_segment_ptr 1
		.amdhsa_user_sgpr_dispatch_id 0
		.amdhsa_user_sgpr_flat_scratch_init 0
		.amdhsa_user_sgpr_kernarg_preload_length 0
		.amdhsa_user_sgpr_kernarg_preload_offset 0
		.amdhsa_user_sgpr_private_segment_size 0
		.amdhsa_uses_dynamic_stack 0
		.amdhsa_system_sgpr_private_segment_wavefront_offset 0
		.amdhsa_system_sgpr_workgroup_id_x 1
		.amdhsa_system_sgpr_workgroup_id_y 0
		.amdhsa_system_sgpr_workgroup_id_z 0
		.amdhsa_system_sgpr_workgroup_info 0
		.amdhsa_system_vgpr_workitem_id 0
		.amdhsa_next_free_vgpr 1
		.amdhsa_next_free_sgpr 0
		.amdhsa_accum_offset 4
		.amdhsa_reserve_vcc 0
		.amdhsa_reserve_flat_scratch 0
		.amdhsa_float_round_mode_32 0
		.amdhsa_float_round_mode_16_64 0
		.amdhsa_float_denorm_mode_32 3
		.amdhsa_float_denorm_mode_16_64 3
		.amdhsa_dx10_clamp 1
		.amdhsa_ieee_mode 1
		.amdhsa_fp16_overflow 0
		.amdhsa_tg_split 0
		.amdhsa_exception_fp_ieee_invalid_op 0
		.amdhsa_exception_fp_denorm_src 0
		.amdhsa_exception_fp_ieee_div_zero 0
		.amdhsa_exception_fp_ieee_overflow 0
		.amdhsa_exception_fp_ieee_underflow 0
		.amdhsa_exception_fp_ieee_inexact 0
		.amdhsa_exception_int_div_zero 0
	.end_amdhsa_kernel
	.section	.text._ZN7rocprim17ROCPRIM_400000_NS6detail17trampoline_kernelINS0_14default_configENS1_22reduce_config_selectorIN6thrust23THRUST_200600_302600_NS5tupleIbffNS6_9null_typeES8_S8_S8_S8_S8_S8_EEEEZNS1_11reduce_implILb1ES3_NS6_11hip_rocprim26transform_input_iterator_tIS9_NS6_12zip_iteratorINS7_INS6_17counting_iteratorIiNS6_11use_defaultESG_SG_EENS6_6detail15normal_iteratorINS6_10device_ptrIfEEEES8_S8_S8_S8_S8_S8_S8_S8_EEEE15transform_tupleIifEEEPS9_S9_12reduce_tupleIifEEE10hipError_tPvRmT1_T2_T3_mT4_P12ihipStream_tbEUlT_E0_NS1_11comp_targetILNS1_3genE10ELNS1_11target_archE1200ELNS1_3gpuE4ELNS1_3repE0EEENS1_30default_config_static_selectorELNS0_4arch9wavefront6targetE1EEEvSY_,"axG",@progbits,_ZN7rocprim17ROCPRIM_400000_NS6detail17trampoline_kernelINS0_14default_configENS1_22reduce_config_selectorIN6thrust23THRUST_200600_302600_NS5tupleIbffNS6_9null_typeES8_S8_S8_S8_S8_S8_EEEEZNS1_11reduce_implILb1ES3_NS6_11hip_rocprim26transform_input_iterator_tIS9_NS6_12zip_iteratorINS7_INS6_17counting_iteratorIiNS6_11use_defaultESG_SG_EENS6_6detail15normal_iteratorINS6_10device_ptrIfEEEES8_S8_S8_S8_S8_S8_S8_S8_EEEE15transform_tupleIifEEEPS9_S9_12reduce_tupleIifEEE10hipError_tPvRmT1_T2_T3_mT4_P12ihipStream_tbEUlT_E0_NS1_11comp_targetILNS1_3genE10ELNS1_11target_archE1200ELNS1_3gpuE4ELNS1_3repE0EEENS1_30default_config_static_selectorELNS0_4arch9wavefront6targetE1EEEvSY_,comdat
.Lfunc_end25:
	.size	_ZN7rocprim17ROCPRIM_400000_NS6detail17trampoline_kernelINS0_14default_configENS1_22reduce_config_selectorIN6thrust23THRUST_200600_302600_NS5tupleIbffNS6_9null_typeES8_S8_S8_S8_S8_S8_EEEEZNS1_11reduce_implILb1ES3_NS6_11hip_rocprim26transform_input_iterator_tIS9_NS6_12zip_iteratorINS7_INS6_17counting_iteratorIiNS6_11use_defaultESG_SG_EENS6_6detail15normal_iteratorINS6_10device_ptrIfEEEES8_S8_S8_S8_S8_S8_S8_S8_EEEE15transform_tupleIifEEEPS9_S9_12reduce_tupleIifEEE10hipError_tPvRmT1_T2_T3_mT4_P12ihipStream_tbEUlT_E0_NS1_11comp_targetILNS1_3genE10ELNS1_11target_archE1200ELNS1_3gpuE4ELNS1_3repE0EEENS1_30default_config_static_selectorELNS0_4arch9wavefront6targetE1EEEvSY_, .Lfunc_end25-_ZN7rocprim17ROCPRIM_400000_NS6detail17trampoline_kernelINS0_14default_configENS1_22reduce_config_selectorIN6thrust23THRUST_200600_302600_NS5tupleIbffNS6_9null_typeES8_S8_S8_S8_S8_S8_EEEEZNS1_11reduce_implILb1ES3_NS6_11hip_rocprim26transform_input_iterator_tIS9_NS6_12zip_iteratorINS7_INS6_17counting_iteratorIiNS6_11use_defaultESG_SG_EENS6_6detail15normal_iteratorINS6_10device_ptrIfEEEES8_S8_S8_S8_S8_S8_S8_S8_EEEE15transform_tupleIifEEEPS9_S9_12reduce_tupleIifEEE10hipError_tPvRmT1_T2_T3_mT4_P12ihipStream_tbEUlT_E0_NS1_11comp_targetILNS1_3genE10ELNS1_11target_archE1200ELNS1_3gpuE4ELNS1_3repE0EEENS1_30default_config_static_selectorELNS0_4arch9wavefront6targetE1EEEvSY_
                                        ; -- End function
	.section	.AMDGPU.csdata,"",@progbits
; Kernel info:
; codeLenInByte = 0
; NumSgprs: 4
; NumVgprs: 0
; NumAgprs: 0
; TotalNumVgprs: 0
; ScratchSize: 0
; MemoryBound: 0
; FloatMode: 240
; IeeeMode: 1
; LDSByteSize: 0 bytes/workgroup (compile time only)
; SGPRBlocks: 0
; VGPRBlocks: 0
; NumSGPRsForWavesPerEU: 4
; NumVGPRsForWavesPerEU: 1
; AccumOffset: 4
; Occupancy: 8
; WaveLimiterHint : 0
; COMPUTE_PGM_RSRC2:SCRATCH_EN: 0
; COMPUTE_PGM_RSRC2:USER_SGPR: 6
; COMPUTE_PGM_RSRC2:TRAP_HANDLER: 0
; COMPUTE_PGM_RSRC2:TGID_X_EN: 1
; COMPUTE_PGM_RSRC2:TGID_Y_EN: 0
; COMPUTE_PGM_RSRC2:TGID_Z_EN: 0
; COMPUTE_PGM_RSRC2:TIDIG_COMP_CNT: 0
; COMPUTE_PGM_RSRC3_GFX90A:ACCUM_OFFSET: 0
; COMPUTE_PGM_RSRC3_GFX90A:TG_SPLIT: 0
	.section	.text._ZN7rocprim17ROCPRIM_400000_NS6detail17trampoline_kernelINS0_14default_configENS1_22reduce_config_selectorIN6thrust23THRUST_200600_302600_NS5tupleIbffNS6_9null_typeES8_S8_S8_S8_S8_S8_EEEEZNS1_11reduce_implILb1ES3_NS6_11hip_rocprim26transform_input_iterator_tIS9_NS6_12zip_iteratorINS7_INS6_17counting_iteratorIiNS6_11use_defaultESG_SG_EENS6_6detail15normal_iteratorINS6_10device_ptrIfEEEES8_S8_S8_S8_S8_S8_S8_S8_EEEE15transform_tupleIifEEEPS9_S9_12reduce_tupleIifEEE10hipError_tPvRmT1_T2_T3_mT4_P12ihipStream_tbEUlT_E0_NS1_11comp_targetILNS1_3genE9ELNS1_11target_archE1100ELNS1_3gpuE3ELNS1_3repE0EEENS1_30default_config_static_selectorELNS0_4arch9wavefront6targetE1EEEvSY_,"axG",@progbits,_ZN7rocprim17ROCPRIM_400000_NS6detail17trampoline_kernelINS0_14default_configENS1_22reduce_config_selectorIN6thrust23THRUST_200600_302600_NS5tupleIbffNS6_9null_typeES8_S8_S8_S8_S8_S8_EEEEZNS1_11reduce_implILb1ES3_NS6_11hip_rocprim26transform_input_iterator_tIS9_NS6_12zip_iteratorINS7_INS6_17counting_iteratorIiNS6_11use_defaultESG_SG_EENS6_6detail15normal_iteratorINS6_10device_ptrIfEEEES8_S8_S8_S8_S8_S8_S8_S8_EEEE15transform_tupleIifEEEPS9_S9_12reduce_tupleIifEEE10hipError_tPvRmT1_T2_T3_mT4_P12ihipStream_tbEUlT_E0_NS1_11comp_targetILNS1_3genE9ELNS1_11target_archE1100ELNS1_3gpuE3ELNS1_3repE0EEENS1_30default_config_static_selectorELNS0_4arch9wavefront6targetE1EEEvSY_,comdat
	.protected	_ZN7rocprim17ROCPRIM_400000_NS6detail17trampoline_kernelINS0_14default_configENS1_22reduce_config_selectorIN6thrust23THRUST_200600_302600_NS5tupleIbffNS6_9null_typeES8_S8_S8_S8_S8_S8_EEEEZNS1_11reduce_implILb1ES3_NS6_11hip_rocprim26transform_input_iterator_tIS9_NS6_12zip_iteratorINS7_INS6_17counting_iteratorIiNS6_11use_defaultESG_SG_EENS6_6detail15normal_iteratorINS6_10device_ptrIfEEEES8_S8_S8_S8_S8_S8_S8_S8_EEEE15transform_tupleIifEEEPS9_S9_12reduce_tupleIifEEE10hipError_tPvRmT1_T2_T3_mT4_P12ihipStream_tbEUlT_E0_NS1_11comp_targetILNS1_3genE9ELNS1_11target_archE1100ELNS1_3gpuE3ELNS1_3repE0EEENS1_30default_config_static_selectorELNS0_4arch9wavefront6targetE1EEEvSY_ ; -- Begin function _ZN7rocprim17ROCPRIM_400000_NS6detail17trampoline_kernelINS0_14default_configENS1_22reduce_config_selectorIN6thrust23THRUST_200600_302600_NS5tupleIbffNS6_9null_typeES8_S8_S8_S8_S8_S8_EEEEZNS1_11reduce_implILb1ES3_NS6_11hip_rocprim26transform_input_iterator_tIS9_NS6_12zip_iteratorINS7_INS6_17counting_iteratorIiNS6_11use_defaultESG_SG_EENS6_6detail15normal_iteratorINS6_10device_ptrIfEEEES8_S8_S8_S8_S8_S8_S8_S8_EEEE15transform_tupleIifEEEPS9_S9_12reduce_tupleIifEEE10hipError_tPvRmT1_T2_T3_mT4_P12ihipStream_tbEUlT_E0_NS1_11comp_targetILNS1_3genE9ELNS1_11target_archE1100ELNS1_3gpuE3ELNS1_3repE0EEENS1_30default_config_static_selectorELNS0_4arch9wavefront6targetE1EEEvSY_
	.globl	_ZN7rocprim17ROCPRIM_400000_NS6detail17trampoline_kernelINS0_14default_configENS1_22reduce_config_selectorIN6thrust23THRUST_200600_302600_NS5tupleIbffNS6_9null_typeES8_S8_S8_S8_S8_S8_EEEEZNS1_11reduce_implILb1ES3_NS6_11hip_rocprim26transform_input_iterator_tIS9_NS6_12zip_iteratorINS7_INS6_17counting_iteratorIiNS6_11use_defaultESG_SG_EENS6_6detail15normal_iteratorINS6_10device_ptrIfEEEES8_S8_S8_S8_S8_S8_S8_S8_EEEE15transform_tupleIifEEEPS9_S9_12reduce_tupleIifEEE10hipError_tPvRmT1_T2_T3_mT4_P12ihipStream_tbEUlT_E0_NS1_11comp_targetILNS1_3genE9ELNS1_11target_archE1100ELNS1_3gpuE3ELNS1_3repE0EEENS1_30default_config_static_selectorELNS0_4arch9wavefront6targetE1EEEvSY_
	.p2align	8
	.type	_ZN7rocprim17ROCPRIM_400000_NS6detail17trampoline_kernelINS0_14default_configENS1_22reduce_config_selectorIN6thrust23THRUST_200600_302600_NS5tupleIbffNS6_9null_typeES8_S8_S8_S8_S8_S8_EEEEZNS1_11reduce_implILb1ES3_NS6_11hip_rocprim26transform_input_iterator_tIS9_NS6_12zip_iteratorINS7_INS6_17counting_iteratorIiNS6_11use_defaultESG_SG_EENS6_6detail15normal_iteratorINS6_10device_ptrIfEEEES8_S8_S8_S8_S8_S8_S8_S8_EEEE15transform_tupleIifEEEPS9_S9_12reduce_tupleIifEEE10hipError_tPvRmT1_T2_T3_mT4_P12ihipStream_tbEUlT_E0_NS1_11comp_targetILNS1_3genE9ELNS1_11target_archE1100ELNS1_3gpuE3ELNS1_3repE0EEENS1_30default_config_static_selectorELNS0_4arch9wavefront6targetE1EEEvSY_,@function
_ZN7rocprim17ROCPRIM_400000_NS6detail17trampoline_kernelINS0_14default_configENS1_22reduce_config_selectorIN6thrust23THRUST_200600_302600_NS5tupleIbffNS6_9null_typeES8_S8_S8_S8_S8_S8_EEEEZNS1_11reduce_implILb1ES3_NS6_11hip_rocprim26transform_input_iterator_tIS9_NS6_12zip_iteratorINS7_INS6_17counting_iteratorIiNS6_11use_defaultESG_SG_EENS6_6detail15normal_iteratorINS6_10device_ptrIfEEEES8_S8_S8_S8_S8_S8_S8_S8_EEEE15transform_tupleIifEEEPS9_S9_12reduce_tupleIifEEE10hipError_tPvRmT1_T2_T3_mT4_P12ihipStream_tbEUlT_E0_NS1_11comp_targetILNS1_3genE9ELNS1_11target_archE1100ELNS1_3gpuE3ELNS1_3repE0EEENS1_30default_config_static_selectorELNS0_4arch9wavefront6targetE1EEEvSY_: ; @_ZN7rocprim17ROCPRIM_400000_NS6detail17trampoline_kernelINS0_14default_configENS1_22reduce_config_selectorIN6thrust23THRUST_200600_302600_NS5tupleIbffNS6_9null_typeES8_S8_S8_S8_S8_S8_EEEEZNS1_11reduce_implILb1ES3_NS6_11hip_rocprim26transform_input_iterator_tIS9_NS6_12zip_iteratorINS7_INS6_17counting_iteratorIiNS6_11use_defaultESG_SG_EENS6_6detail15normal_iteratorINS6_10device_ptrIfEEEES8_S8_S8_S8_S8_S8_S8_S8_EEEE15transform_tupleIifEEEPS9_S9_12reduce_tupleIifEEE10hipError_tPvRmT1_T2_T3_mT4_P12ihipStream_tbEUlT_E0_NS1_11comp_targetILNS1_3genE9ELNS1_11target_archE1100ELNS1_3gpuE3ELNS1_3repE0EEENS1_30default_config_static_selectorELNS0_4arch9wavefront6targetE1EEEvSY_
; %bb.0:
	.section	.rodata,"a",@progbits
	.p2align	6, 0x0
	.amdhsa_kernel _ZN7rocprim17ROCPRIM_400000_NS6detail17trampoline_kernelINS0_14default_configENS1_22reduce_config_selectorIN6thrust23THRUST_200600_302600_NS5tupleIbffNS6_9null_typeES8_S8_S8_S8_S8_S8_EEEEZNS1_11reduce_implILb1ES3_NS6_11hip_rocprim26transform_input_iterator_tIS9_NS6_12zip_iteratorINS7_INS6_17counting_iteratorIiNS6_11use_defaultESG_SG_EENS6_6detail15normal_iteratorINS6_10device_ptrIfEEEES8_S8_S8_S8_S8_S8_S8_S8_EEEE15transform_tupleIifEEEPS9_S9_12reduce_tupleIifEEE10hipError_tPvRmT1_T2_T3_mT4_P12ihipStream_tbEUlT_E0_NS1_11comp_targetILNS1_3genE9ELNS1_11target_archE1100ELNS1_3gpuE3ELNS1_3repE0EEENS1_30default_config_static_selectorELNS0_4arch9wavefront6targetE1EEEvSY_
		.amdhsa_group_segment_fixed_size 0
		.amdhsa_private_segment_fixed_size 0
		.amdhsa_kernarg_size 80
		.amdhsa_user_sgpr_count 6
		.amdhsa_user_sgpr_private_segment_buffer 1
		.amdhsa_user_sgpr_dispatch_ptr 0
		.amdhsa_user_sgpr_queue_ptr 0
		.amdhsa_user_sgpr_kernarg_segment_ptr 1
		.amdhsa_user_sgpr_dispatch_id 0
		.amdhsa_user_sgpr_flat_scratch_init 0
		.amdhsa_user_sgpr_kernarg_preload_length 0
		.amdhsa_user_sgpr_kernarg_preload_offset 0
		.amdhsa_user_sgpr_private_segment_size 0
		.amdhsa_uses_dynamic_stack 0
		.amdhsa_system_sgpr_private_segment_wavefront_offset 0
		.amdhsa_system_sgpr_workgroup_id_x 1
		.amdhsa_system_sgpr_workgroup_id_y 0
		.amdhsa_system_sgpr_workgroup_id_z 0
		.amdhsa_system_sgpr_workgroup_info 0
		.amdhsa_system_vgpr_workitem_id 0
		.amdhsa_next_free_vgpr 1
		.amdhsa_next_free_sgpr 0
		.amdhsa_accum_offset 4
		.amdhsa_reserve_vcc 0
		.amdhsa_reserve_flat_scratch 0
		.amdhsa_float_round_mode_32 0
		.amdhsa_float_round_mode_16_64 0
		.amdhsa_float_denorm_mode_32 3
		.amdhsa_float_denorm_mode_16_64 3
		.amdhsa_dx10_clamp 1
		.amdhsa_ieee_mode 1
		.amdhsa_fp16_overflow 0
		.amdhsa_tg_split 0
		.amdhsa_exception_fp_ieee_invalid_op 0
		.amdhsa_exception_fp_denorm_src 0
		.amdhsa_exception_fp_ieee_div_zero 0
		.amdhsa_exception_fp_ieee_overflow 0
		.amdhsa_exception_fp_ieee_underflow 0
		.amdhsa_exception_fp_ieee_inexact 0
		.amdhsa_exception_int_div_zero 0
	.end_amdhsa_kernel
	.section	.text._ZN7rocprim17ROCPRIM_400000_NS6detail17trampoline_kernelINS0_14default_configENS1_22reduce_config_selectorIN6thrust23THRUST_200600_302600_NS5tupleIbffNS6_9null_typeES8_S8_S8_S8_S8_S8_EEEEZNS1_11reduce_implILb1ES3_NS6_11hip_rocprim26transform_input_iterator_tIS9_NS6_12zip_iteratorINS7_INS6_17counting_iteratorIiNS6_11use_defaultESG_SG_EENS6_6detail15normal_iteratorINS6_10device_ptrIfEEEES8_S8_S8_S8_S8_S8_S8_S8_EEEE15transform_tupleIifEEEPS9_S9_12reduce_tupleIifEEE10hipError_tPvRmT1_T2_T3_mT4_P12ihipStream_tbEUlT_E0_NS1_11comp_targetILNS1_3genE9ELNS1_11target_archE1100ELNS1_3gpuE3ELNS1_3repE0EEENS1_30default_config_static_selectorELNS0_4arch9wavefront6targetE1EEEvSY_,"axG",@progbits,_ZN7rocprim17ROCPRIM_400000_NS6detail17trampoline_kernelINS0_14default_configENS1_22reduce_config_selectorIN6thrust23THRUST_200600_302600_NS5tupleIbffNS6_9null_typeES8_S8_S8_S8_S8_S8_EEEEZNS1_11reduce_implILb1ES3_NS6_11hip_rocprim26transform_input_iterator_tIS9_NS6_12zip_iteratorINS7_INS6_17counting_iteratorIiNS6_11use_defaultESG_SG_EENS6_6detail15normal_iteratorINS6_10device_ptrIfEEEES8_S8_S8_S8_S8_S8_S8_S8_EEEE15transform_tupleIifEEEPS9_S9_12reduce_tupleIifEEE10hipError_tPvRmT1_T2_T3_mT4_P12ihipStream_tbEUlT_E0_NS1_11comp_targetILNS1_3genE9ELNS1_11target_archE1100ELNS1_3gpuE3ELNS1_3repE0EEENS1_30default_config_static_selectorELNS0_4arch9wavefront6targetE1EEEvSY_,comdat
.Lfunc_end26:
	.size	_ZN7rocprim17ROCPRIM_400000_NS6detail17trampoline_kernelINS0_14default_configENS1_22reduce_config_selectorIN6thrust23THRUST_200600_302600_NS5tupleIbffNS6_9null_typeES8_S8_S8_S8_S8_S8_EEEEZNS1_11reduce_implILb1ES3_NS6_11hip_rocprim26transform_input_iterator_tIS9_NS6_12zip_iteratorINS7_INS6_17counting_iteratorIiNS6_11use_defaultESG_SG_EENS6_6detail15normal_iteratorINS6_10device_ptrIfEEEES8_S8_S8_S8_S8_S8_S8_S8_EEEE15transform_tupleIifEEEPS9_S9_12reduce_tupleIifEEE10hipError_tPvRmT1_T2_T3_mT4_P12ihipStream_tbEUlT_E0_NS1_11comp_targetILNS1_3genE9ELNS1_11target_archE1100ELNS1_3gpuE3ELNS1_3repE0EEENS1_30default_config_static_selectorELNS0_4arch9wavefront6targetE1EEEvSY_, .Lfunc_end26-_ZN7rocprim17ROCPRIM_400000_NS6detail17trampoline_kernelINS0_14default_configENS1_22reduce_config_selectorIN6thrust23THRUST_200600_302600_NS5tupleIbffNS6_9null_typeES8_S8_S8_S8_S8_S8_EEEEZNS1_11reduce_implILb1ES3_NS6_11hip_rocprim26transform_input_iterator_tIS9_NS6_12zip_iteratorINS7_INS6_17counting_iteratorIiNS6_11use_defaultESG_SG_EENS6_6detail15normal_iteratorINS6_10device_ptrIfEEEES8_S8_S8_S8_S8_S8_S8_S8_EEEE15transform_tupleIifEEEPS9_S9_12reduce_tupleIifEEE10hipError_tPvRmT1_T2_T3_mT4_P12ihipStream_tbEUlT_E0_NS1_11comp_targetILNS1_3genE9ELNS1_11target_archE1100ELNS1_3gpuE3ELNS1_3repE0EEENS1_30default_config_static_selectorELNS0_4arch9wavefront6targetE1EEEvSY_
                                        ; -- End function
	.section	.AMDGPU.csdata,"",@progbits
; Kernel info:
; codeLenInByte = 0
; NumSgprs: 4
; NumVgprs: 0
; NumAgprs: 0
; TotalNumVgprs: 0
; ScratchSize: 0
; MemoryBound: 0
; FloatMode: 240
; IeeeMode: 1
; LDSByteSize: 0 bytes/workgroup (compile time only)
; SGPRBlocks: 0
; VGPRBlocks: 0
; NumSGPRsForWavesPerEU: 4
; NumVGPRsForWavesPerEU: 1
; AccumOffset: 4
; Occupancy: 8
; WaveLimiterHint : 0
; COMPUTE_PGM_RSRC2:SCRATCH_EN: 0
; COMPUTE_PGM_RSRC2:USER_SGPR: 6
; COMPUTE_PGM_RSRC2:TRAP_HANDLER: 0
; COMPUTE_PGM_RSRC2:TGID_X_EN: 1
; COMPUTE_PGM_RSRC2:TGID_Y_EN: 0
; COMPUTE_PGM_RSRC2:TGID_Z_EN: 0
; COMPUTE_PGM_RSRC2:TIDIG_COMP_CNT: 0
; COMPUTE_PGM_RSRC3_GFX90A:ACCUM_OFFSET: 0
; COMPUTE_PGM_RSRC3_GFX90A:TG_SPLIT: 0
	.section	.text._ZN7rocprim17ROCPRIM_400000_NS6detail17trampoline_kernelINS0_14default_configENS1_22reduce_config_selectorIN6thrust23THRUST_200600_302600_NS5tupleIbffNS6_9null_typeES8_S8_S8_S8_S8_S8_EEEEZNS1_11reduce_implILb1ES3_NS6_11hip_rocprim26transform_input_iterator_tIS9_NS6_12zip_iteratorINS7_INS6_17counting_iteratorIiNS6_11use_defaultESG_SG_EENS6_6detail15normal_iteratorINS6_10device_ptrIfEEEES8_S8_S8_S8_S8_S8_S8_S8_EEEE15transform_tupleIifEEEPS9_S9_12reduce_tupleIifEEE10hipError_tPvRmT1_T2_T3_mT4_P12ihipStream_tbEUlT_E0_NS1_11comp_targetILNS1_3genE8ELNS1_11target_archE1030ELNS1_3gpuE2ELNS1_3repE0EEENS1_30default_config_static_selectorELNS0_4arch9wavefront6targetE1EEEvSY_,"axG",@progbits,_ZN7rocprim17ROCPRIM_400000_NS6detail17trampoline_kernelINS0_14default_configENS1_22reduce_config_selectorIN6thrust23THRUST_200600_302600_NS5tupleIbffNS6_9null_typeES8_S8_S8_S8_S8_S8_EEEEZNS1_11reduce_implILb1ES3_NS6_11hip_rocprim26transform_input_iterator_tIS9_NS6_12zip_iteratorINS7_INS6_17counting_iteratorIiNS6_11use_defaultESG_SG_EENS6_6detail15normal_iteratorINS6_10device_ptrIfEEEES8_S8_S8_S8_S8_S8_S8_S8_EEEE15transform_tupleIifEEEPS9_S9_12reduce_tupleIifEEE10hipError_tPvRmT1_T2_T3_mT4_P12ihipStream_tbEUlT_E0_NS1_11comp_targetILNS1_3genE8ELNS1_11target_archE1030ELNS1_3gpuE2ELNS1_3repE0EEENS1_30default_config_static_selectorELNS0_4arch9wavefront6targetE1EEEvSY_,comdat
	.protected	_ZN7rocprim17ROCPRIM_400000_NS6detail17trampoline_kernelINS0_14default_configENS1_22reduce_config_selectorIN6thrust23THRUST_200600_302600_NS5tupleIbffNS6_9null_typeES8_S8_S8_S8_S8_S8_EEEEZNS1_11reduce_implILb1ES3_NS6_11hip_rocprim26transform_input_iterator_tIS9_NS6_12zip_iteratorINS7_INS6_17counting_iteratorIiNS6_11use_defaultESG_SG_EENS6_6detail15normal_iteratorINS6_10device_ptrIfEEEES8_S8_S8_S8_S8_S8_S8_S8_EEEE15transform_tupleIifEEEPS9_S9_12reduce_tupleIifEEE10hipError_tPvRmT1_T2_T3_mT4_P12ihipStream_tbEUlT_E0_NS1_11comp_targetILNS1_3genE8ELNS1_11target_archE1030ELNS1_3gpuE2ELNS1_3repE0EEENS1_30default_config_static_selectorELNS0_4arch9wavefront6targetE1EEEvSY_ ; -- Begin function _ZN7rocprim17ROCPRIM_400000_NS6detail17trampoline_kernelINS0_14default_configENS1_22reduce_config_selectorIN6thrust23THRUST_200600_302600_NS5tupleIbffNS6_9null_typeES8_S8_S8_S8_S8_S8_EEEEZNS1_11reduce_implILb1ES3_NS6_11hip_rocprim26transform_input_iterator_tIS9_NS6_12zip_iteratorINS7_INS6_17counting_iteratorIiNS6_11use_defaultESG_SG_EENS6_6detail15normal_iteratorINS6_10device_ptrIfEEEES8_S8_S8_S8_S8_S8_S8_S8_EEEE15transform_tupleIifEEEPS9_S9_12reduce_tupleIifEEE10hipError_tPvRmT1_T2_T3_mT4_P12ihipStream_tbEUlT_E0_NS1_11comp_targetILNS1_3genE8ELNS1_11target_archE1030ELNS1_3gpuE2ELNS1_3repE0EEENS1_30default_config_static_selectorELNS0_4arch9wavefront6targetE1EEEvSY_
	.globl	_ZN7rocprim17ROCPRIM_400000_NS6detail17trampoline_kernelINS0_14default_configENS1_22reduce_config_selectorIN6thrust23THRUST_200600_302600_NS5tupleIbffNS6_9null_typeES8_S8_S8_S8_S8_S8_EEEEZNS1_11reduce_implILb1ES3_NS6_11hip_rocprim26transform_input_iterator_tIS9_NS6_12zip_iteratorINS7_INS6_17counting_iteratorIiNS6_11use_defaultESG_SG_EENS6_6detail15normal_iteratorINS6_10device_ptrIfEEEES8_S8_S8_S8_S8_S8_S8_S8_EEEE15transform_tupleIifEEEPS9_S9_12reduce_tupleIifEEE10hipError_tPvRmT1_T2_T3_mT4_P12ihipStream_tbEUlT_E0_NS1_11comp_targetILNS1_3genE8ELNS1_11target_archE1030ELNS1_3gpuE2ELNS1_3repE0EEENS1_30default_config_static_selectorELNS0_4arch9wavefront6targetE1EEEvSY_
	.p2align	8
	.type	_ZN7rocprim17ROCPRIM_400000_NS6detail17trampoline_kernelINS0_14default_configENS1_22reduce_config_selectorIN6thrust23THRUST_200600_302600_NS5tupleIbffNS6_9null_typeES8_S8_S8_S8_S8_S8_EEEEZNS1_11reduce_implILb1ES3_NS6_11hip_rocprim26transform_input_iterator_tIS9_NS6_12zip_iteratorINS7_INS6_17counting_iteratorIiNS6_11use_defaultESG_SG_EENS6_6detail15normal_iteratorINS6_10device_ptrIfEEEES8_S8_S8_S8_S8_S8_S8_S8_EEEE15transform_tupleIifEEEPS9_S9_12reduce_tupleIifEEE10hipError_tPvRmT1_T2_T3_mT4_P12ihipStream_tbEUlT_E0_NS1_11comp_targetILNS1_3genE8ELNS1_11target_archE1030ELNS1_3gpuE2ELNS1_3repE0EEENS1_30default_config_static_selectorELNS0_4arch9wavefront6targetE1EEEvSY_,@function
_ZN7rocprim17ROCPRIM_400000_NS6detail17trampoline_kernelINS0_14default_configENS1_22reduce_config_selectorIN6thrust23THRUST_200600_302600_NS5tupleIbffNS6_9null_typeES8_S8_S8_S8_S8_S8_EEEEZNS1_11reduce_implILb1ES3_NS6_11hip_rocprim26transform_input_iterator_tIS9_NS6_12zip_iteratorINS7_INS6_17counting_iteratorIiNS6_11use_defaultESG_SG_EENS6_6detail15normal_iteratorINS6_10device_ptrIfEEEES8_S8_S8_S8_S8_S8_S8_S8_EEEE15transform_tupleIifEEEPS9_S9_12reduce_tupleIifEEE10hipError_tPvRmT1_T2_T3_mT4_P12ihipStream_tbEUlT_E0_NS1_11comp_targetILNS1_3genE8ELNS1_11target_archE1030ELNS1_3gpuE2ELNS1_3repE0EEENS1_30default_config_static_selectorELNS0_4arch9wavefront6targetE1EEEvSY_: ; @_ZN7rocprim17ROCPRIM_400000_NS6detail17trampoline_kernelINS0_14default_configENS1_22reduce_config_selectorIN6thrust23THRUST_200600_302600_NS5tupleIbffNS6_9null_typeES8_S8_S8_S8_S8_S8_EEEEZNS1_11reduce_implILb1ES3_NS6_11hip_rocprim26transform_input_iterator_tIS9_NS6_12zip_iteratorINS7_INS6_17counting_iteratorIiNS6_11use_defaultESG_SG_EENS6_6detail15normal_iteratorINS6_10device_ptrIfEEEES8_S8_S8_S8_S8_S8_S8_S8_EEEE15transform_tupleIifEEEPS9_S9_12reduce_tupleIifEEE10hipError_tPvRmT1_T2_T3_mT4_P12ihipStream_tbEUlT_E0_NS1_11comp_targetILNS1_3genE8ELNS1_11target_archE1030ELNS1_3gpuE2ELNS1_3repE0EEENS1_30default_config_static_selectorELNS0_4arch9wavefront6targetE1EEEvSY_
; %bb.0:
	.section	.rodata,"a",@progbits
	.p2align	6, 0x0
	.amdhsa_kernel _ZN7rocprim17ROCPRIM_400000_NS6detail17trampoline_kernelINS0_14default_configENS1_22reduce_config_selectorIN6thrust23THRUST_200600_302600_NS5tupleIbffNS6_9null_typeES8_S8_S8_S8_S8_S8_EEEEZNS1_11reduce_implILb1ES3_NS6_11hip_rocprim26transform_input_iterator_tIS9_NS6_12zip_iteratorINS7_INS6_17counting_iteratorIiNS6_11use_defaultESG_SG_EENS6_6detail15normal_iteratorINS6_10device_ptrIfEEEES8_S8_S8_S8_S8_S8_S8_S8_EEEE15transform_tupleIifEEEPS9_S9_12reduce_tupleIifEEE10hipError_tPvRmT1_T2_T3_mT4_P12ihipStream_tbEUlT_E0_NS1_11comp_targetILNS1_3genE8ELNS1_11target_archE1030ELNS1_3gpuE2ELNS1_3repE0EEENS1_30default_config_static_selectorELNS0_4arch9wavefront6targetE1EEEvSY_
		.amdhsa_group_segment_fixed_size 0
		.amdhsa_private_segment_fixed_size 0
		.amdhsa_kernarg_size 80
		.amdhsa_user_sgpr_count 6
		.amdhsa_user_sgpr_private_segment_buffer 1
		.amdhsa_user_sgpr_dispatch_ptr 0
		.amdhsa_user_sgpr_queue_ptr 0
		.amdhsa_user_sgpr_kernarg_segment_ptr 1
		.amdhsa_user_sgpr_dispatch_id 0
		.amdhsa_user_sgpr_flat_scratch_init 0
		.amdhsa_user_sgpr_kernarg_preload_length 0
		.amdhsa_user_sgpr_kernarg_preload_offset 0
		.amdhsa_user_sgpr_private_segment_size 0
		.amdhsa_uses_dynamic_stack 0
		.amdhsa_system_sgpr_private_segment_wavefront_offset 0
		.amdhsa_system_sgpr_workgroup_id_x 1
		.amdhsa_system_sgpr_workgroup_id_y 0
		.amdhsa_system_sgpr_workgroup_id_z 0
		.amdhsa_system_sgpr_workgroup_info 0
		.amdhsa_system_vgpr_workitem_id 0
		.amdhsa_next_free_vgpr 1
		.amdhsa_next_free_sgpr 0
		.amdhsa_accum_offset 4
		.amdhsa_reserve_vcc 0
		.amdhsa_reserve_flat_scratch 0
		.amdhsa_float_round_mode_32 0
		.amdhsa_float_round_mode_16_64 0
		.amdhsa_float_denorm_mode_32 3
		.amdhsa_float_denorm_mode_16_64 3
		.amdhsa_dx10_clamp 1
		.amdhsa_ieee_mode 1
		.amdhsa_fp16_overflow 0
		.amdhsa_tg_split 0
		.amdhsa_exception_fp_ieee_invalid_op 0
		.amdhsa_exception_fp_denorm_src 0
		.amdhsa_exception_fp_ieee_div_zero 0
		.amdhsa_exception_fp_ieee_overflow 0
		.amdhsa_exception_fp_ieee_underflow 0
		.amdhsa_exception_fp_ieee_inexact 0
		.amdhsa_exception_int_div_zero 0
	.end_amdhsa_kernel
	.section	.text._ZN7rocprim17ROCPRIM_400000_NS6detail17trampoline_kernelINS0_14default_configENS1_22reduce_config_selectorIN6thrust23THRUST_200600_302600_NS5tupleIbffNS6_9null_typeES8_S8_S8_S8_S8_S8_EEEEZNS1_11reduce_implILb1ES3_NS6_11hip_rocprim26transform_input_iterator_tIS9_NS6_12zip_iteratorINS7_INS6_17counting_iteratorIiNS6_11use_defaultESG_SG_EENS6_6detail15normal_iteratorINS6_10device_ptrIfEEEES8_S8_S8_S8_S8_S8_S8_S8_EEEE15transform_tupleIifEEEPS9_S9_12reduce_tupleIifEEE10hipError_tPvRmT1_T2_T3_mT4_P12ihipStream_tbEUlT_E0_NS1_11comp_targetILNS1_3genE8ELNS1_11target_archE1030ELNS1_3gpuE2ELNS1_3repE0EEENS1_30default_config_static_selectorELNS0_4arch9wavefront6targetE1EEEvSY_,"axG",@progbits,_ZN7rocprim17ROCPRIM_400000_NS6detail17trampoline_kernelINS0_14default_configENS1_22reduce_config_selectorIN6thrust23THRUST_200600_302600_NS5tupleIbffNS6_9null_typeES8_S8_S8_S8_S8_S8_EEEEZNS1_11reduce_implILb1ES3_NS6_11hip_rocprim26transform_input_iterator_tIS9_NS6_12zip_iteratorINS7_INS6_17counting_iteratorIiNS6_11use_defaultESG_SG_EENS6_6detail15normal_iteratorINS6_10device_ptrIfEEEES8_S8_S8_S8_S8_S8_S8_S8_EEEE15transform_tupleIifEEEPS9_S9_12reduce_tupleIifEEE10hipError_tPvRmT1_T2_T3_mT4_P12ihipStream_tbEUlT_E0_NS1_11comp_targetILNS1_3genE8ELNS1_11target_archE1030ELNS1_3gpuE2ELNS1_3repE0EEENS1_30default_config_static_selectorELNS0_4arch9wavefront6targetE1EEEvSY_,comdat
.Lfunc_end27:
	.size	_ZN7rocprim17ROCPRIM_400000_NS6detail17trampoline_kernelINS0_14default_configENS1_22reduce_config_selectorIN6thrust23THRUST_200600_302600_NS5tupleIbffNS6_9null_typeES8_S8_S8_S8_S8_S8_EEEEZNS1_11reduce_implILb1ES3_NS6_11hip_rocprim26transform_input_iterator_tIS9_NS6_12zip_iteratorINS7_INS6_17counting_iteratorIiNS6_11use_defaultESG_SG_EENS6_6detail15normal_iteratorINS6_10device_ptrIfEEEES8_S8_S8_S8_S8_S8_S8_S8_EEEE15transform_tupleIifEEEPS9_S9_12reduce_tupleIifEEE10hipError_tPvRmT1_T2_T3_mT4_P12ihipStream_tbEUlT_E0_NS1_11comp_targetILNS1_3genE8ELNS1_11target_archE1030ELNS1_3gpuE2ELNS1_3repE0EEENS1_30default_config_static_selectorELNS0_4arch9wavefront6targetE1EEEvSY_, .Lfunc_end27-_ZN7rocprim17ROCPRIM_400000_NS6detail17trampoline_kernelINS0_14default_configENS1_22reduce_config_selectorIN6thrust23THRUST_200600_302600_NS5tupleIbffNS6_9null_typeES8_S8_S8_S8_S8_S8_EEEEZNS1_11reduce_implILb1ES3_NS6_11hip_rocprim26transform_input_iterator_tIS9_NS6_12zip_iteratorINS7_INS6_17counting_iteratorIiNS6_11use_defaultESG_SG_EENS6_6detail15normal_iteratorINS6_10device_ptrIfEEEES8_S8_S8_S8_S8_S8_S8_S8_EEEE15transform_tupleIifEEEPS9_S9_12reduce_tupleIifEEE10hipError_tPvRmT1_T2_T3_mT4_P12ihipStream_tbEUlT_E0_NS1_11comp_targetILNS1_3genE8ELNS1_11target_archE1030ELNS1_3gpuE2ELNS1_3repE0EEENS1_30default_config_static_selectorELNS0_4arch9wavefront6targetE1EEEvSY_
                                        ; -- End function
	.section	.AMDGPU.csdata,"",@progbits
; Kernel info:
; codeLenInByte = 0
; NumSgprs: 4
; NumVgprs: 0
; NumAgprs: 0
; TotalNumVgprs: 0
; ScratchSize: 0
; MemoryBound: 0
; FloatMode: 240
; IeeeMode: 1
; LDSByteSize: 0 bytes/workgroup (compile time only)
; SGPRBlocks: 0
; VGPRBlocks: 0
; NumSGPRsForWavesPerEU: 4
; NumVGPRsForWavesPerEU: 1
; AccumOffset: 4
; Occupancy: 8
; WaveLimiterHint : 0
; COMPUTE_PGM_RSRC2:SCRATCH_EN: 0
; COMPUTE_PGM_RSRC2:USER_SGPR: 6
; COMPUTE_PGM_RSRC2:TRAP_HANDLER: 0
; COMPUTE_PGM_RSRC2:TGID_X_EN: 1
; COMPUTE_PGM_RSRC2:TGID_Y_EN: 0
; COMPUTE_PGM_RSRC2:TGID_Z_EN: 0
; COMPUTE_PGM_RSRC2:TIDIG_COMP_CNT: 0
; COMPUTE_PGM_RSRC3_GFX90A:ACCUM_OFFSET: 0
; COMPUTE_PGM_RSRC3_GFX90A:TG_SPLIT: 0
	.section	.text._ZN7rocprim17ROCPRIM_400000_NS6detail17trampoline_kernelINS0_14default_configENS1_22reduce_config_selectorIN6thrust23THRUST_200600_302600_NS5tupleIbffNS6_9null_typeES8_S8_S8_S8_S8_S8_EEEEZNS1_11reduce_implILb1ES3_NS6_11hip_rocprim26transform_input_iterator_tIS9_NS6_12zip_iteratorINS7_INS6_17counting_iteratorIiNS6_11use_defaultESG_SG_EENS6_6detail15normal_iteratorINS6_10device_ptrIfEEEES8_S8_S8_S8_S8_S8_S8_S8_EEEE15transform_tupleIifEEEPS9_S9_12reduce_tupleIifEEE10hipError_tPvRmT1_T2_T3_mT4_P12ihipStream_tbEUlT_E1_NS1_11comp_targetILNS1_3genE0ELNS1_11target_archE4294967295ELNS1_3gpuE0ELNS1_3repE0EEENS1_30default_config_static_selectorELNS0_4arch9wavefront6targetE1EEEvSY_,"axG",@progbits,_ZN7rocprim17ROCPRIM_400000_NS6detail17trampoline_kernelINS0_14default_configENS1_22reduce_config_selectorIN6thrust23THRUST_200600_302600_NS5tupleIbffNS6_9null_typeES8_S8_S8_S8_S8_S8_EEEEZNS1_11reduce_implILb1ES3_NS6_11hip_rocprim26transform_input_iterator_tIS9_NS6_12zip_iteratorINS7_INS6_17counting_iteratorIiNS6_11use_defaultESG_SG_EENS6_6detail15normal_iteratorINS6_10device_ptrIfEEEES8_S8_S8_S8_S8_S8_S8_S8_EEEE15transform_tupleIifEEEPS9_S9_12reduce_tupleIifEEE10hipError_tPvRmT1_T2_T3_mT4_P12ihipStream_tbEUlT_E1_NS1_11comp_targetILNS1_3genE0ELNS1_11target_archE4294967295ELNS1_3gpuE0ELNS1_3repE0EEENS1_30default_config_static_selectorELNS0_4arch9wavefront6targetE1EEEvSY_,comdat
	.protected	_ZN7rocprim17ROCPRIM_400000_NS6detail17trampoline_kernelINS0_14default_configENS1_22reduce_config_selectorIN6thrust23THRUST_200600_302600_NS5tupleIbffNS6_9null_typeES8_S8_S8_S8_S8_S8_EEEEZNS1_11reduce_implILb1ES3_NS6_11hip_rocprim26transform_input_iterator_tIS9_NS6_12zip_iteratorINS7_INS6_17counting_iteratorIiNS6_11use_defaultESG_SG_EENS6_6detail15normal_iteratorINS6_10device_ptrIfEEEES8_S8_S8_S8_S8_S8_S8_S8_EEEE15transform_tupleIifEEEPS9_S9_12reduce_tupleIifEEE10hipError_tPvRmT1_T2_T3_mT4_P12ihipStream_tbEUlT_E1_NS1_11comp_targetILNS1_3genE0ELNS1_11target_archE4294967295ELNS1_3gpuE0ELNS1_3repE0EEENS1_30default_config_static_selectorELNS0_4arch9wavefront6targetE1EEEvSY_ ; -- Begin function _ZN7rocprim17ROCPRIM_400000_NS6detail17trampoline_kernelINS0_14default_configENS1_22reduce_config_selectorIN6thrust23THRUST_200600_302600_NS5tupleIbffNS6_9null_typeES8_S8_S8_S8_S8_S8_EEEEZNS1_11reduce_implILb1ES3_NS6_11hip_rocprim26transform_input_iterator_tIS9_NS6_12zip_iteratorINS7_INS6_17counting_iteratorIiNS6_11use_defaultESG_SG_EENS6_6detail15normal_iteratorINS6_10device_ptrIfEEEES8_S8_S8_S8_S8_S8_S8_S8_EEEE15transform_tupleIifEEEPS9_S9_12reduce_tupleIifEEE10hipError_tPvRmT1_T2_T3_mT4_P12ihipStream_tbEUlT_E1_NS1_11comp_targetILNS1_3genE0ELNS1_11target_archE4294967295ELNS1_3gpuE0ELNS1_3repE0EEENS1_30default_config_static_selectorELNS0_4arch9wavefront6targetE1EEEvSY_
	.globl	_ZN7rocprim17ROCPRIM_400000_NS6detail17trampoline_kernelINS0_14default_configENS1_22reduce_config_selectorIN6thrust23THRUST_200600_302600_NS5tupleIbffNS6_9null_typeES8_S8_S8_S8_S8_S8_EEEEZNS1_11reduce_implILb1ES3_NS6_11hip_rocprim26transform_input_iterator_tIS9_NS6_12zip_iteratorINS7_INS6_17counting_iteratorIiNS6_11use_defaultESG_SG_EENS6_6detail15normal_iteratorINS6_10device_ptrIfEEEES8_S8_S8_S8_S8_S8_S8_S8_EEEE15transform_tupleIifEEEPS9_S9_12reduce_tupleIifEEE10hipError_tPvRmT1_T2_T3_mT4_P12ihipStream_tbEUlT_E1_NS1_11comp_targetILNS1_3genE0ELNS1_11target_archE4294967295ELNS1_3gpuE0ELNS1_3repE0EEENS1_30default_config_static_selectorELNS0_4arch9wavefront6targetE1EEEvSY_
	.p2align	8
	.type	_ZN7rocprim17ROCPRIM_400000_NS6detail17trampoline_kernelINS0_14default_configENS1_22reduce_config_selectorIN6thrust23THRUST_200600_302600_NS5tupleIbffNS6_9null_typeES8_S8_S8_S8_S8_S8_EEEEZNS1_11reduce_implILb1ES3_NS6_11hip_rocprim26transform_input_iterator_tIS9_NS6_12zip_iteratorINS7_INS6_17counting_iteratorIiNS6_11use_defaultESG_SG_EENS6_6detail15normal_iteratorINS6_10device_ptrIfEEEES8_S8_S8_S8_S8_S8_S8_S8_EEEE15transform_tupleIifEEEPS9_S9_12reduce_tupleIifEEE10hipError_tPvRmT1_T2_T3_mT4_P12ihipStream_tbEUlT_E1_NS1_11comp_targetILNS1_3genE0ELNS1_11target_archE4294967295ELNS1_3gpuE0ELNS1_3repE0EEENS1_30default_config_static_selectorELNS0_4arch9wavefront6targetE1EEEvSY_,@function
_ZN7rocprim17ROCPRIM_400000_NS6detail17trampoline_kernelINS0_14default_configENS1_22reduce_config_selectorIN6thrust23THRUST_200600_302600_NS5tupleIbffNS6_9null_typeES8_S8_S8_S8_S8_S8_EEEEZNS1_11reduce_implILb1ES3_NS6_11hip_rocprim26transform_input_iterator_tIS9_NS6_12zip_iteratorINS7_INS6_17counting_iteratorIiNS6_11use_defaultESG_SG_EENS6_6detail15normal_iteratorINS6_10device_ptrIfEEEES8_S8_S8_S8_S8_S8_S8_S8_EEEE15transform_tupleIifEEEPS9_S9_12reduce_tupleIifEEE10hipError_tPvRmT1_T2_T3_mT4_P12ihipStream_tbEUlT_E1_NS1_11comp_targetILNS1_3genE0ELNS1_11target_archE4294967295ELNS1_3gpuE0ELNS1_3repE0EEENS1_30default_config_static_selectorELNS0_4arch9wavefront6targetE1EEEvSY_: ; @_ZN7rocprim17ROCPRIM_400000_NS6detail17trampoline_kernelINS0_14default_configENS1_22reduce_config_selectorIN6thrust23THRUST_200600_302600_NS5tupleIbffNS6_9null_typeES8_S8_S8_S8_S8_S8_EEEEZNS1_11reduce_implILb1ES3_NS6_11hip_rocprim26transform_input_iterator_tIS9_NS6_12zip_iteratorINS7_INS6_17counting_iteratorIiNS6_11use_defaultESG_SG_EENS6_6detail15normal_iteratorINS6_10device_ptrIfEEEES8_S8_S8_S8_S8_S8_S8_S8_EEEE15transform_tupleIifEEEPS9_S9_12reduce_tupleIifEEE10hipError_tPvRmT1_T2_T3_mT4_P12ihipStream_tbEUlT_E1_NS1_11comp_targetILNS1_3genE0ELNS1_11target_archE4294967295ELNS1_3gpuE0ELNS1_3repE0EEENS1_30default_config_static_selectorELNS0_4arch9wavefront6targetE1EEEvSY_
; %bb.0:
	.section	.rodata,"a",@progbits
	.p2align	6, 0x0
	.amdhsa_kernel _ZN7rocprim17ROCPRIM_400000_NS6detail17trampoline_kernelINS0_14default_configENS1_22reduce_config_selectorIN6thrust23THRUST_200600_302600_NS5tupleIbffNS6_9null_typeES8_S8_S8_S8_S8_S8_EEEEZNS1_11reduce_implILb1ES3_NS6_11hip_rocprim26transform_input_iterator_tIS9_NS6_12zip_iteratorINS7_INS6_17counting_iteratorIiNS6_11use_defaultESG_SG_EENS6_6detail15normal_iteratorINS6_10device_ptrIfEEEES8_S8_S8_S8_S8_S8_S8_S8_EEEE15transform_tupleIifEEEPS9_S9_12reduce_tupleIifEEE10hipError_tPvRmT1_T2_T3_mT4_P12ihipStream_tbEUlT_E1_NS1_11comp_targetILNS1_3genE0ELNS1_11target_archE4294967295ELNS1_3gpuE0ELNS1_3repE0EEENS1_30default_config_static_selectorELNS0_4arch9wavefront6targetE1EEEvSY_
		.amdhsa_group_segment_fixed_size 0
		.amdhsa_private_segment_fixed_size 0
		.amdhsa_kernarg_size 64
		.amdhsa_user_sgpr_count 6
		.amdhsa_user_sgpr_private_segment_buffer 1
		.amdhsa_user_sgpr_dispatch_ptr 0
		.amdhsa_user_sgpr_queue_ptr 0
		.amdhsa_user_sgpr_kernarg_segment_ptr 1
		.amdhsa_user_sgpr_dispatch_id 0
		.amdhsa_user_sgpr_flat_scratch_init 0
		.amdhsa_user_sgpr_kernarg_preload_length 0
		.amdhsa_user_sgpr_kernarg_preload_offset 0
		.amdhsa_user_sgpr_private_segment_size 0
		.amdhsa_uses_dynamic_stack 0
		.amdhsa_system_sgpr_private_segment_wavefront_offset 0
		.amdhsa_system_sgpr_workgroup_id_x 1
		.amdhsa_system_sgpr_workgroup_id_y 0
		.amdhsa_system_sgpr_workgroup_id_z 0
		.amdhsa_system_sgpr_workgroup_info 0
		.amdhsa_system_vgpr_workitem_id 0
		.amdhsa_next_free_vgpr 1
		.amdhsa_next_free_sgpr 0
		.amdhsa_accum_offset 4
		.amdhsa_reserve_vcc 0
		.amdhsa_reserve_flat_scratch 0
		.amdhsa_float_round_mode_32 0
		.amdhsa_float_round_mode_16_64 0
		.amdhsa_float_denorm_mode_32 3
		.amdhsa_float_denorm_mode_16_64 3
		.amdhsa_dx10_clamp 1
		.amdhsa_ieee_mode 1
		.amdhsa_fp16_overflow 0
		.amdhsa_tg_split 0
		.amdhsa_exception_fp_ieee_invalid_op 0
		.amdhsa_exception_fp_denorm_src 0
		.amdhsa_exception_fp_ieee_div_zero 0
		.amdhsa_exception_fp_ieee_overflow 0
		.amdhsa_exception_fp_ieee_underflow 0
		.amdhsa_exception_fp_ieee_inexact 0
		.amdhsa_exception_int_div_zero 0
	.end_amdhsa_kernel
	.section	.text._ZN7rocprim17ROCPRIM_400000_NS6detail17trampoline_kernelINS0_14default_configENS1_22reduce_config_selectorIN6thrust23THRUST_200600_302600_NS5tupleIbffNS6_9null_typeES8_S8_S8_S8_S8_S8_EEEEZNS1_11reduce_implILb1ES3_NS6_11hip_rocprim26transform_input_iterator_tIS9_NS6_12zip_iteratorINS7_INS6_17counting_iteratorIiNS6_11use_defaultESG_SG_EENS6_6detail15normal_iteratorINS6_10device_ptrIfEEEES8_S8_S8_S8_S8_S8_S8_S8_EEEE15transform_tupleIifEEEPS9_S9_12reduce_tupleIifEEE10hipError_tPvRmT1_T2_T3_mT4_P12ihipStream_tbEUlT_E1_NS1_11comp_targetILNS1_3genE0ELNS1_11target_archE4294967295ELNS1_3gpuE0ELNS1_3repE0EEENS1_30default_config_static_selectorELNS0_4arch9wavefront6targetE1EEEvSY_,"axG",@progbits,_ZN7rocprim17ROCPRIM_400000_NS6detail17trampoline_kernelINS0_14default_configENS1_22reduce_config_selectorIN6thrust23THRUST_200600_302600_NS5tupleIbffNS6_9null_typeES8_S8_S8_S8_S8_S8_EEEEZNS1_11reduce_implILb1ES3_NS6_11hip_rocprim26transform_input_iterator_tIS9_NS6_12zip_iteratorINS7_INS6_17counting_iteratorIiNS6_11use_defaultESG_SG_EENS6_6detail15normal_iteratorINS6_10device_ptrIfEEEES8_S8_S8_S8_S8_S8_S8_S8_EEEE15transform_tupleIifEEEPS9_S9_12reduce_tupleIifEEE10hipError_tPvRmT1_T2_T3_mT4_P12ihipStream_tbEUlT_E1_NS1_11comp_targetILNS1_3genE0ELNS1_11target_archE4294967295ELNS1_3gpuE0ELNS1_3repE0EEENS1_30default_config_static_selectorELNS0_4arch9wavefront6targetE1EEEvSY_,comdat
.Lfunc_end28:
	.size	_ZN7rocprim17ROCPRIM_400000_NS6detail17trampoline_kernelINS0_14default_configENS1_22reduce_config_selectorIN6thrust23THRUST_200600_302600_NS5tupleIbffNS6_9null_typeES8_S8_S8_S8_S8_S8_EEEEZNS1_11reduce_implILb1ES3_NS6_11hip_rocprim26transform_input_iterator_tIS9_NS6_12zip_iteratorINS7_INS6_17counting_iteratorIiNS6_11use_defaultESG_SG_EENS6_6detail15normal_iteratorINS6_10device_ptrIfEEEES8_S8_S8_S8_S8_S8_S8_S8_EEEE15transform_tupleIifEEEPS9_S9_12reduce_tupleIifEEE10hipError_tPvRmT1_T2_T3_mT4_P12ihipStream_tbEUlT_E1_NS1_11comp_targetILNS1_3genE0ELNS1_11target_archE4294967295ELNS1_3gpuE0ELNS1_3repE0EEENS1_30default_config_static_selectorELNS0_4arch9wavefront6targetE1EEEvSY_, .Lfunc_end28-_ZN7rocprim17ROCPRIM_400000_NS6detail17trampoline_kernelINS0_14default_configENS1_22reduce_config_selectorIN6thrust23THRUST_200600_302600_NS5tupleIbffNS6_9null_typeES8_S8_S8_S8_S8_S8_EEEEZNS1_11reduce_implILb1ES3_NS6_11hip_rocprim26transform_input_iterator_tIS9_NS6_12zip_iteratorINS7_INS6_17counting_iteratorIiNS6_11use_defaultESG_SG_EENS6_6detail15normal_iteratorINS6_10device_ptrIfEEEES8_S8_S8_S8_S8_S8_S8_S8_EEEE15transform_tupleIifEEEPS9_S9_12reduce_tupleIifEEE10hipError_tPvRmT1_T2_T3_mT4_P12ihipStream_tbEUlT_E1_NS1_11comp_targetILNS1_3genE0ELNS1_11target_archE4294967295ELNS1_3gpuE0ELNS1_3repE0EEENS1_30default_config_static_selectorELNS0_4arch9wavefront6targetE1EEEvSY_
                                        ; -- End function
	.section	.AMDGPU.csdata,"",@progbits
; Kernel info:
; codeLenInByte = 0
; NumSgprs: 4
; NumVgprs: 0
; NumAgprs: 0
; TotalNumVgprs: 0
; ScratchSize: 0
; MemoryBound: 0
; FloatMode: 240
; IeeeMode: 1
; LDSByteSize: 0 bytes/workgroup (compile time only)
; SGPRBlocks: 0
; VGPRBlocks: 0
; NumSGPRsForWavesPerEU: 4
; NumVGPRsForWavesPerEU: 1
; AccumOffset: 4
; Occupancy: 8
; WaveLimiterHint : 0
; COMPUTE_PGM_RSRC2:SCRATCH_EN: 0
; COMPUTE_PGM_RSRC2:USER_SGPR: 6
; COMPUTE_PGM_RSRC2:TRAP_HANDLER: 0
; COMPUTE_PGM_RSRC2:TGID_X_EN: 1
; COMPUTE_PGM_RSRC2:TGID_Y_EN: 0
; COMPUTE_PGM_RSRC2:TGID_Z_EN: 0
; COMPUTE_PGM_RSRC2:TIDIG_COMP_CNT: 0
; COMPUTE_PGM_RSRC3_GFX90A:ACCUM_OFFSET: 0
; COMPUTE_PGM_RSRC3_GFX90A:TG_SPLIT: 0
	.section	.text._ZN7rocprim17ROCPRIM_400000_NS6detail17trampoline_kernelINS0_14default_configENS1_22reduce_config_selectorIN6thrust23THRUST_200600_302600_NS5tupleIbffNS6_9null_typeES8_S8_S8_S8_S8_S8_EEEEZNS1_11reduce_implILb1ES3_NS6_11hip_rocprim26transform_input_iterator_tIS9_NS6_12zip_iteratorINS7_INS6_17counting_iteratorIiNS6_11use_defaultESG_SG_EENS6_6detail15normal_iteratorINS6_10device_ptrIfEEEES8_S8_S8_S8_S8_S8_S8_S8_EEEE15transform_tupleIifEEEPS9_S9_12reduce_tupleIifEEE10hipError_tPvRmT1_T2_T3_mT4_P12ihipStream_tbEUlT_E1_NS1_11comp_targetILNS1_3genE5ELNS1_11target_archE942ELNS1_3gpuE9ELNS1_3repE0EEENS1_30default_config_static_selectorELNS0_4arch9wavefront6targetE1EEEvSY_,"axG",@progbits,_ZN7rocprim17ROCPRIM_400000_NS6detail17trampoline_kernelINS0_14default_configENS1_22reduce_config_selectorIN6thrust23THRUST_200600_302600_NS5tupleIbffNS6_9null_typeES8_S8_S8_S8_S8_S8_EEEEZNS1_11reduce_implILb1ES3_NS6_11hip_rocprim26transform_input_iterator_tIS9_NS6_12zip_iteratorINS7_INS6_17counting_iteratorIiNS6_11use_defaultESG_SG_EENS6_6detail15normal_iteratorINS6_10device_ptrIfEEEES8_S8_S8_S8_S8_S8_S8_S8_EEEE15transform_tupleIifEEEPS9_S9_12reduce_tupleIifEEE10hipError_tPvRmT1_T2_T3_mT4_P12ihipStream_tbEUlT_E1_NS1_11comp_targetILNS1_3genE5ELNS1_11target_archE942ELNS1_3gpuE9ELNS1_3repE0EEENS1_30default_config_static_selectorELNS0_4arch9wavefront6targetE1EEEvSY_,comdat
	.protected	_ZN7rocprim17ROCPRIM_400000_NS6detail17trampoline_kernelINS0_14default_configENS1_22reduce_config_selectorIN6thrust23THRUST_200600_302600_NS5tupleIbffNS6_9null_typeES8_S8_S8_S8_S8_S8_EEEEZNS1_11reduce_implILb1ES3_NS6_11hip_rocprim26transform_input_iterator_tIS9_NS6_12zip_iteratorINS7_INS6_17counting_iteratorIiNS6_11use_defaultESG_SG_EENS6_6detail15normal_iteratorINS6_10device_ptrIfEEEES8_S8_S8_S8_S8_S8_S8_S8_EEEE15transform_tupleIifEEEPS9_S9_12reduce_tupleIifEEE10hipError_tPvRmT1_T2_T3_mT4_P12ihipStream_tbEUlT_E1_NS1_11comp_targetILNS1_3genE5ELNS1_11target_archE942ELNS1_3gpuE9ELNS1_3repE0EEENS1_30default_config_static_selectorELNS0_4arch9wavefront6targetE1EEEvSY_ ; -- Begin function _ZN7rocprim17ROCPRIM_400000_NS6detail17trampoline_kernelINS0_14default_configENS1_22reduce_config_selectorIN6thrust23THRUST_200600_302600_NS5tupleIbffNS6_9null_typeES8_S8_S8_S8_S8_S8_EEEEZNS1_11reduce_implILb1ES3_NS6_11hip_rocprim26transform_input_iterator_tIS9_NS6_12zip_iteratorINS7_INS6_17counting_iteratorIiNS6_11use_defaultESG_SG_EENS6_6detail15normal_iteratorINS6_10device_ptrIfEEEES8_S8_S8_S8_S8_S8_S8_S8_EEEE15transform_tupleIifEEEPS9_S9_12reduce_tupleIifEEE10hipError_tPvRmT1_T2_T3_mT4_P12ihipStream_tbEUlT_E1_NS1_11comp_targetILNS1_3genE5ELNS1_11target_archE942ELNS1_3gpuE9ELNS1_3repE0EEENS1_30default_config_static_selectorELNS0_4arch9wavefront6targetE1EEEvSY_
	.globl	_ZN7rocprim17ROCPRIM_400000_NS6detail17trampoline_kernelINS0_14default_configENS1_22reduce_config_selectorIN6thrust23THRUST_200600_302600_NS5tupleIbffNS6_9null_typeES8_S8_S8_S8_S8_S8_EEEEZNS1_11reduce_implILb1ES3_NS6_11hip_rocprim26transform_input_iterator_tIS9_NS6_12zip_iteratorINS7_INS6_17counting_iteratorIiNS6_11use_defaultESG_SG_EENS6_6detail15normal_iteratorINS6_10device_ptrIfEEEES8_S8_S8_S8_S8_S8_S8_S8_EEEE15transform_tupleIifEEEPS9_S9_12reduce_tupleIifEEE10hipError_tPvRmT1_T2_T3_mT4_P12ihipStream_tbEUlT_E1_NS1_11comp_targetILNS1_3genE5ELNS1_11target_archE942ELNS1_3gpuE9ELNS1_3repE0EEENS1_30default_config_static_selectorELNS0_4arch9wavefront6targetE1EEEvSY_
	.p2align	8
	.type	_ZN7rocprim17ROCPRIM_400000_NS6detail17trampoline_kernelINS0_14default_configENS1_22reduce_config_selectorIN6thrust23THRUST_200600_302600_NS5tupleIbffNS6_9null_typeES8_S8_S8_S8_S8_S8_EEEEZNS1_11reduce_implILb1ES3_NS6_11hip_rocprim26transform_input_iterator_tIS9_NS6_12zip_iteratorINS7_INS6_17counting_iteratorIiNS6_11use_defaultESG_SG_EENS6_6detail15normal_iteratorINS6_10device_ptrIfEEEES8_S8_S8_S8_S8_S8_S8_S8_EEEE15transform_tupleIifEEEPS9_S9_12reduce_tupleIifEEE10hipError_tPvRmT1_T2_T3_mT4_P12ihipStream_tbEUlT_E1_NS1_11comp_targetILNS1_3genE5ELNS1_11target_archE942ELNS1_3gpuE9ELNS1_3repE0EEENS1_30default_config_static_selectorELNS0_4arch9wavefront6targetE1EEEvSY_,@function
_ZN7rocprim17ROCPRIM_400000_NS6detail17trampoline_kernelINS0_14default_configENS1_22reduce_config_selectorIN6thrust23THRUST_200600_302600_NS5tupleIbffNS6_9null_typeES8_S8_S8_S8_S8_S8_EEEEZNS1_11reduce_implILb1ES3_NS6_11hip_rocprim26transform_input_iterator_tIS9_NS6_12zip_iteratorINS7_INS6_17counting_iteratorIiNS6_11use_defaultESG_SG_EENS6_6detail15normal_iteratorINS6_10device_ptrIfEEEES8_S8_S8_S8_S8_S8_S8_S8_EEEE15transform_tupleIifEEEPS9_S9_12reduce_tupleIifEEE10hipError_tPvRmT1_T2_T3_mT4_P12ihipStream_tbEUlT_E1_NS1_11comp_targetILNS1_3genE5ELNS1_11target_archE942ELNS1_3gpuE9ELNS1_3repE0EEENS1_30default_config_static_selectorELNS0_4arch9wavefront6targetE1EEEvSY_: ; @_ZN7rocprim17ROCPRIM_400000_NS6detail17trampoline_kernelINS0_14default_configENS1_22reduce_config_selectorIN6thrust23THRUST_200600_302600_NS5tupleIbffNS6_9null_typeES8_S8_S8_S8_S8_S8_EEEEZNS1_11reduce_implILb1ES3_NS6_11hip_rocprim26transform_input_iterator_tIS9_NS6_12zip_iteratorINS7_INS6_17counting_iteratorIiNS6_11use_defaultESG_SG_EENS6_6detail15normal_iteratorINS6_10device_ptrIfEEEES8_S8_S8_S8_S8_S8_S8_S8_EEEE15transform_tupleIifEEEPS9_S9_12reduce_tupleIifEEE10hipError_tPvRmT1_T2_T3_mT4_P12ihipStream_tbEUlT_E1_NS1_11comp_targetILNS1_3genE5ELNS1_11target_archE942ELNS1_3gpuE9ELNS1_3repE0EEENS1_30default_config_static_selectorELNS0_4arch9wavefront6targetE1EEEvSY_
; %bb.0:
	.section	.rodata,"a",@progbits
	.p2align	6, 0x0
	.amdhsa_kernel _ZN7rocprim17ROCPRIM_400000_NS6detail17trampoline_kernelINS0_14default_configENS1_22reduce_config_selectorIN6thrust23THRUST_200600_302600_NS5tupleIbffNS6_9null_typeES8_S8_S8_S8_S8_S8_EEEEZNS1_11reduce_implILb1ES3_NS6_11hip_rocprim26transform_input_iterator_tIS9_NS6_12zip_iteratorINS7_INS6_17counting_iteratorIiNS6_11use_defaultESG_SG_EENS6_6detail15normal_iteratorINS6_10device_ptrIfEEEES8_S8_S8_S8_S8_S8_S8_S8_EEEE15transform_tupleIifEEEPS9_S9_12reduce_tupleIifEEE10hipError_tPvRmT1_T2_T3_mT4_P12ihipStream_tbEUlT_E1_NS1_11comp_targetILNS1_3genE5ELNS1_11target_archE942ELNS1_3gpuE9ELNS1_3repE0EEENS1_30default_config_static_selectorELNS0_4arch9wavefront6targetE1EEEvSY_
		.amdhsa_group_segment_fixed_size 0
		.amdhsa_private_segment_fixed_size 0
		.amdhsa_kernarg_size 64
		.amdhsa_user_sgpr_count 6
		.amdhsa_user_sgpr_private_segment_buffer 1
		.amdhsa_user_sgpr_dispatch_ptr 0
		.amdhsa_user_sgpr_queue_ptr 0
		.amdhsa_user_sgpr_kernarg_segment_ptr 1
		.amdhsa_user_sgpr_dispatch_id 0
		.amdhsa_user_sgpr_flat_scratch_init 0
		.amdhsa_user_sgpr_kernarg_preload_length 0
		.amdhsa_user_sgpr_kernarg_preload_offset 0
		.amdhsa_user_sgpr_private_segment_size 0
		.amdhsa_uses_dynamic_stack 0
		.amdhsa_system_sgpr_private_segment_wavefront_offset 0
		.amdhsa_system_sgpr_workgroup_id_x 1
		.amdhsa_system_sgpr_workgroup_id_y 0
		.amdhsa_system_sgpr_workgroup_id_z 0
		.amdhsa_system_sgpr_workgroup_info 0
		.amdhsa_system_vgpr_workitem_id 0
		.amdhsa_next_free_vgpr 1
		.amdhsa_next_free_sgpr 0
		.amdhsa_accum_offset 4
		.amdhsa_reserve_vcc 0
		.amdhsa_reserve_flat_scratch 0
		.amdhsa_float_round_mode_32 0
		.amdhsa_float_round_mode_16_64 0
		.amdhsa_float_denorm_mode_32 3
		.amdhsa_float_denorm_mode_16_64 3
		.amdhsa_dx10_clamp 1
		.amdhsa_ieee_mode 1
		.amdhsa_fp16_overflow 0
		.amdhsa_tg_split 0
		.amdhsa_exception_fp_ieee_invalid_op 0
		.amdhsa_exception_fp_denorm_src 0
		.amdhsa_exception_fp_ieee_div_zero 0
		.amdhsa_exception_fp_ieee_overflow 0
		.amdhsa_exception_fp_ieee_underflow 0
		.amdhsa_exception_fp_ieee_inexact 0
		.amdhsa_exception_int_div_zero 0
	.end_amdhsa_kernel
	.section	.text._ZN7rocprim17ROCPRIM_400000_NS6detail17trampoline_kernelINS0_14default_configENS1_22reduce_config_selectorIN6thrust23THRUST_200600_302600_NS5tupleIbffNS6_9null_typeES8_S8_S8_S8_S8_S8_EEEEZNS1_11reduce_implILb1ES3_NS6_11hip_rocprim26transform_input_iterator_tIS9_NS6_12zip_iteratorINS7_INS6_17counting_iteratorIiNS6_11use_defaultESG_SG_EENS6_6detail15normal_iteratorINS6_10device_ptrIfEEEES8_S8_S8_S8_S8_S8_S8_S8_EEEE15transform_tupleIifEEEPS9_S9_12reduce_tupleIifEEE10hipError_tPvRmT1_T2_T3_mT4_P12ihipStream_tbEUlT_E1_NS1_11comp_targetILNS1_3genE5ELNS1_11target_archE942ELNS1_3gpuE9ELNS1_3repE0EEENS1_30default_config_static_selectorELNS0_4arch9wavefront6targetE1EEEvSY_,"axG",@progbits,_ZN7rocprim17ROCPRIM_400000_NS6detail17trampoline_kernelINS0_14default_configENS1_22reduce_config_selectorIN6thrust23THRUST_200600_302600_NS5tupleIbffNS6_9null_typeES8_S8_S8_S8_S8_S8_EEEEZNS1_11reduce_implILb1ES3_NS6_11hip_rocprim26transform_input_iterator_tIS9_NS6_12zip_iteratorINS7_INS6_17counting_iteratorIiNS6_11use_defaultESG_SG_EENS6_6detail15normal_iteratorINS6_10device_ptrIfEEEES8_S8_S8_S8_S8_S8_S8_S8_EEEE15transform_tupleIifEEEPS9_S9_12reduce_tupleIifEEE10hipError_tPvRmT1_T2_T3_mT4_P12ihipStream_tbEUlT_E1_NS1_11comp_targetILNS1_3genE5ELNS1_11target_archE942ELNS1_3gpuE9ELNS1_3repE0EEENS1_30default_config_static_selectorELNS0_4arch9wavefront6targetE1EEEvSY_,comdat
.Lfunc_end29:
	.size	_ZN7rocprim17ROCPRIM_400000_NS6detail17trampoline_kernelINS0_14default_configENS1_22reduce_config_selectorIN6thrust23THRUST_200600_302600_NS5tupleIbffNS6_9null_typeES8_S8_S8_S8_S8_S8_EEEEZNS1_11reduce_implILb1ES3_NS6_11hip_rocprim26transform_input_iterator_tIS9_NS6_12zip_iteratorINS7_INS6_17counting_iteratorIiNS6_11use_defaultESG_SG_EENS6_6detail15normal_iteratorINS6_10device_ptrIfEEEES8_S8_S8_S8_S8_S8_S8_S8_EEEE15transform_tupleIifEEEPS9_S9_12reduce_tupleIifEEE10hipError_tPvRmT1_T2_T3_mT4_P12ihipStream_tbEUlT_E1_NS1_11comp_targetILNS1_3genE5ELNS1_11target_archE942ELNS1_3gpuE9ELNS1_3repE0EEENS1_30default_config_static_selectorELNS0_4arch9wavefront6targetE1EEEvSY_, .Lfunc_end29-_ZN7rocprim17ROCPRIM_400000_NS6detail17trampoline_kernelINS0_14default_configENS1_22reduce_config_selectorIN6thrust23THRUST_200600_302600_NS5tupleIbffNS6_9null_typeES8_S8_S8_S8_S8_S8_EEEEZNS1_11reduce_implILb1ES3_NS6_11hip_rocprim26transform_input_iterator_tIS9_NS6_12zip_iteratorINS7_INS6_17counting_iteratorIiNS6_11use_defaultESG_SG_EENS6_6detail15normal_iteratorINS6_10device_ptrIfEEEES8_S8_S8_S8_S8_S8_S8_S8_EEEE15transform_tupleIifEEEPS9_S9_12reduce_tupleIifEEE10hipError_tPvRmT1_T2_T3_mT4_P12ihipStream_tbEUlT_E1_NS1_11comp_targetILNS1_3genE5ELNS1_11target_archE942ELNS1_3gpuE9ELNS1_3repE0EEENS1_30default_config_static_selectorELNS0_4arch9wavefront6targetE1EEEvSY_
                                        ; -- End function
	.section	.AMDGPU.csdata,"",@progbits
; Kernel info:
; codeLenInByte = 0
; NumSgprs: 4
; NumVgprs: 0
; NumAgprs: 0
; TotalNumVgprs: 0
; ScratchSize: 0
; MemoryBound: 0
; FloatMode: 240
; IeeeMode: 1
; LDSByteSize: 0 bytes/workgroup (compile time only)
; SGPRBlocks: 0
; VGPRBlocks: 0
; NumSGPRsForWavesPerEU: 4
; NumVGPRsForWavesPerEU: 1
; AccumOffset: 4
; Occupancy: 8
; WaveLimiterHint : 0
; COMPUTE_PGM_RSRC2:SCRATCH_EN: 0
; COMPUTE_PGM_RSRC2:USER_SGPR: 6
; COMPUTE_PGM_RSRC2:TRAP_HANDLER: 0
; COMPUTE_PGM_RSRC2:TGID_X_EN: 1
; COMPUTE_PGM_RSRC2:TGID_Y_EN: 0
; COMPUTE_PGM_RSRC2:TGID_Z_EN: 0
; COMPUTE_PGM_RSRC2:TIDIG_COMP_CNT: 0
; COMPUTE_PGM_RSRC3_GFX90A:ACCUM_OFFSET: 0
; COMPUTE_PGM_RSRC3_GFX90A:TG_SPLIT: 0
	.section	.text._ZN7rocprim17ROCPRIM_400000_NS6detail17trampoline_kernelINS0_14default_configENS1_22reduce_config_selectorIN6thrust23THRUST_200600_302600_NS5tupleIbffNS6_9null_typeES8_S8_S8_S8_S8_S8_EEEEZNS1_11reduce_implILb1ES3_NS6_11hip_rocprim26transform_input_iterator_tIS9_NS6_12zip_iteratorINS7_INS6_17counting_iteratorIiNS6_11use_defaultESG_SG_EENS6_6detail15normal_iteratorINS6_10device_ptrIfEEEES8_S8_S8_S8_S8_S8_S8_S8_EEEE15transform_tupleIifEEEPS9_S9_12reduce_tupleIifEEE10hipError_tPvRmT1_T2_T3_mT4_P12ihipStream_tbEUlT_E1_NS1_11comp_targetILNS1_3genE4ELNS1_11target_archE910ELNS1_3gpuE8ELNS1_3repE0EEENS1_30default_config_static_selectorELNS0_4arch9wavefront6targetE1EEEvSY_,"axG",@progbits,_ZN7rocprim17ROCPRIM_400000_NS6detail17trampoline_kernelINS0_14default_configENS1_22reduce_config_selectorIN6thrust23THRUST_200600_302600_NS5tupleIbffNS6_9null_typeES8_S8_S8_S8_S8_S8_EEEEZNS1_11reduce_implILb1ES3_NS6_11hip_rocprim26transform_input_iterator_tIS9_NS6_12zip_iteratorINS7_INS6_17counting_iteratorIiNS6_11use_defaultESG_SG_EENS6_6detail15normal_iteratorINS6_10device_ptrIfEEEES8_S8_S8_S8_S8_S8_S8_S8_EEEE15transform_tupleIifEEEPS9_S9_12reduce_tupleIifEEE10hipError_tPvRmT1_T2_T3_mT4_P12ihipStream_tbEUlT_E1_NS1_11comp_targetILNS1_3genE4ELNS1_11target_archE910ELNS1_3gpuE8ELNS1_3repE0EEENS1_30default_config_static_selectorELNS0_4arch9wavefront6targetE1EEEvSY_,comdat
	.protected	_ZN7rocprim17ROCPRIM_400000_NS6detail17trampoline_kernelINS0_14default_configENS1_22reduce_config_selectorIN6thrust23THRUST_200600_302600_NS5tupleIbffNS6_9null_typeES8_S8_S8_S8_S8_S8_EEEEZNS1_11reduce_implILb1ES3_NS6_11hip_rocprim26transform_input_iterator_tIS9_NS6_12zip_iteratorINS7_INS6_17counting_iteratorIiNS6_11use_defaultESG_SG_EENS6_6detail15normal_iteratorINS6_10device_ptrIfEEEES8_S8_S8_S8_S8_S8_S8_S8_EEEE15transform_tupleIifEEEPS9_S9_12reduce_tupleIifEEE10hipError_tPvRmT1_T2_T3_mT4_P12ihipStream_tbEUlT_E1_NS1_11comp_targetILNS1_3genE4ELNS1_11target_archE910ELNS1_3gpuE8ELNS1_3repE0EEENS1_30default_config_static_selectorELNS0_4arch9wavefront6targetE1EEEvSY_ ; -- Begin function _ZN7rocprim17ROCPRIM_400000_NS6detail17trampoline_kernelINS0_14default_configENS1_22reduce_config_selectorIN6thrust23THRUST_200600_302600_NS5tupleIbffNS6_9null_typeES8_S8_S8_S8_S8_S8_EEEEZNS1_11reduce_implILb1ES3_NS6_11hip_rocprim26transform_input_iterator_tIS9_NS6_12zip_iteratorINS7_INS6_17counting_iteratorIiNS6_11use_defaultESG_SG_EENS6_6detail15normal_iteratorINS6_10device_ptrIfEEEES8_S8_S8_S8_S8_S8_S8_S8_EEEE15transform_tupleIifEEEPS9_S9_12reduce_tupleIifEEE10hipError_tPvRmT1_T2_T3_mT4_P12ihipStream_tbEUlT_E1_NS1_11comp_targetILNS1_3genE4ELNS1_11target_archE910ELNS1_3gpuE8ELNS1_3repE0EEENS1_30default_config_static_selectorELNS0_4arch9wavefront6targetE1EEEvSY_
	.globl	_ZN7rocprim17ROCPRIM_400000_NS6detail17trampoline_kernelINS0_14default_configENS1_22reduce_config_selectorIN6thrust23THRUST_200600_302600_NS5tupleIbffNS6_9null_typeES8_S8_S8_S8_S8_S8_EEEEZNS1_11reduce_implILb1ES3_NS6_11hip_rocprim26transform_input_iterator_tIS9_NS6_12zip_iteratorINS7_INS6_17counting_iteratorIiNS6_11use_defaultESG_SG_EENS6_6detail15normal_iteratorINS6_10device_ptrIfEEEES8_S8_S8_S8_S8_S8_S8_S8_EEEE15transform_tupleIifEEEPS9_S9_12reduce_tupleIifEEE10hipError_tPvRmT1_T2_T3_mT4_P12ihipStream_tbEUlT_E1_NS1_11comp_targetILNS1_3genE4ELNS1_11target_archE910ELNS1_3gpuE8ELNS1_3repE0EEENS1_30default_config_static_selectorELNS0_4arch9wavefront6targetE1EEEvSY_
	.p2align	8
	.type	_ZN7rocprim17ROCPRIM_400000_NS6detail17trampoline_kernelINS0_14default_configENS1_22reduce_config_selectorIN6thrust23THRUST_200600_302600_NS5tupleIbffNS6_9null_typeES8_S8_S8_S8_S8_S8_EEEEZNS1_11reduce_implILb1ES3_NS6_11hip_rocprim26transform_input_iterator_tIS9_NS6_12zip_iteratorINS7_INS6_17counting_iteratorIiNS6_11use_defaultESG_SG_EENS6_6detail15normal_iteratorINS6_10device_ptrIfEEEES8_S8_S8_S8_S8_S8_S8_S8_EEEE15transform_tupleIifEEEPS9_S9_12reduce_tupleIifEEE10hipError_tPvRmT1_T2_T3_mT4_P12ihipStream_tbEUlT_E1_NS1_11comp_targetILNS1_3genE4ELNS1_11target_archE910ELNS1_3gpuE8ELNS1_3repE0EEENS1_30default_config_static_selectorELNS0_4arch9wavefront6targetE1EEEvSY_,@function
_ZN7rocprim17ROCPRIM_400000_NS6detail17trampoline_kernelINS0_14default_configENS1_22reduce_config_selectorIN6thrust23THRUST_200600_302600_NS5tupleIbffNS6_9null_typeES8_S8_S8_S8_S8_S8_EEEEZNS1_11reduce_implILb1ES3_NS6_11hip_rocprim26transform_input_iterator_tIS9_NS6_12zip_iteratorINS7_INS6_17counting_iteratorIiNS6_11use_defaultESG_SG_EENS6_6detail15normal_iteratorINS6_10device_ptrIfEEEES8_S8_S8_S8_S8_S8_S8_S8_EEEE15transform_tupleIifEEEPS9_S9_12reduce_tupleIifEEE10hipError_tPvRmT1_T2_T3_mT4_P12ihipStream_tbEUlT_E1_NS1_11comp_targetILNS1_3genE4ELNS1_11target_archE910ELNS1_3gpuE8ELNS1_3repE0EEENS1_30default_config_static_selectorELNS0_4arch9wavefront6targetE1EEEvSY_: ; @_ZN7rocprim17ROCPRIM_400000_NS6detail17trampoline_kernelINS0_14default_configENS1_22reduce_config_selectorIN6thrust23THRUST_200600_302600_NS5tupleIbffNS6_9null_typeES8_S8_S8_S8_S8_S8_EEEEZNS1_11reduce_implILb1ES3_NS6_11hip_rocprim26transform_input_iterator_tIS9_NS6_12zip_iteratorINS7_INS6_17counting_iteratorIiNS6_11use_defaultESG_SG_EENS6_6detail15normal_iteratorINS6_10device_ptrIfEEEES8_S8_S8_S8_S8_S8_S8_S8_EEEE15transform_tupleIifEEEPS9_S9_12reduce_tupleIifEEE10hipError_tPvRmT1_T2_T3_mT4_P12ihipStream_tbEUlT_E1_NS1_11comp_targetILNS1_3genE4ELNS1_11target_archE910ELNS1_3gpuE8ELNS1_3repE0EEENS1_30default_config_static_selectorELNS0_4arch9wavefront6targetE1EEEvSY_
; %bb.0:
	s_load_dwordx2 s[46:47], s[4:5], 0x4
	s_load_dwordx8 s[36:43], s[4:5], 0x10
	s_load_dword s33, s[4:5], 0x30
	s_load_dwordx2 s[44:45], s[4:5], 0x34
	s_waitcnt lgkmcnt(0)
	s_cmp_lt_i32 s46, 4
	s_cbranch_scc1 .LBB30_44
; %bb.1:
	s_cmp_gt_i32 s46, 7
	s_cbranch_scc0 .LBB30_45
; %bb.2:
	s_cmp_gt_i32 s46, 15
	s_cbranch_scc0 .LBB30_46
; %bb.3:
	s_cmp_eq_u32 s46, 16
	s_mov_b64 s[48:49], 0
	s_cbranch_scc0 .LBB30_47
; %bb.4:
	s_mov_b32 s7, 0
	s_lshl_b32 s52, s6, 12
	s_mov_b32 s53, s7
	s_lshr_b64 s[0:1], s[40:41], 12
	s_add_i32 s54, s47, s52
	s_lshl_b64 s[2:3], s[52:53], 2
	s_add_u32 s50, s36, s2
	s_addc_u32 s51, s37, s3
	s_cmp_lg_u64 s[0:1], s[6:7]
	s_cbranch_scc0 .LBB30_90
; %bb.5:
	s_abs_i32 s28, s39
	v_cvt_f32_u32_e32 v1, s28
	s_sub_i32 s0, 0, s28
	v_add_u32_e32 v12, s54, v0
	v_sub_u32_e32 v5, 0, v12
	v_rcp_iflag_f32_e32 v1, v1
	v_max_i32_e32 v5, v12, v5
	v_lshlrev_b32_e32 v13, 2, v0
	v_mov_b32_e32 v3, s51
	v_mul_f32_e32 v1, 0x4f7ffffe, v1
	v_cvt_u32_f32_e32 v1, v1
	v_add_co_u32_e32 v2, vcc, s50, v13
	v_addc_co_u32_e32 v3, vcc, 0, v3, vcc
	v_mul_lo_u32 v6, s0, v1
	v_mul_hi_u32 v6, v1, v6
	v_add_u32_e32 v69, v1, v6
	v_mul_hi_u32 v1, v5, v69
	v_mul_lo_u32 v1, v1, s28
	v_sub_u32_e32 v1, v5, v1
	v_subrev_u32_e32 v5, s28, v1
	v_cmp_le_u32_e32 vcc, s28, v1
	v_cndmask_b32_e32 v1, v1, v5, vcc
	v_subrev_u32_e32 v5, s28, v1
	v_cmp_le_u32_e32 vcc, s28, v1
	v_ashrrev_i32_e32 v4, 31, v12
	v_cndmask_b32_e32 v1, v1, v5, vcc
	v_xor_b32_e32 v1, v1, v4
	v_sub_u32_e32 v1, v1, v4
	v_cmp_gt_i32_e32 vcc, s38, v1
	v_add_u32_e32 v1, 0x100, v12
	v_sub_u32_e32 v5, 0, v1
	v_ashrrev_i32_e32 v4, 31, v1
	v_max_i32_e32 v1, v1, v5
	v_mul_hi_u32 v5, v1, v69
	v_mul_lo_u32 v5, v5, s28
	v_sub_u32_e32 v1, v1, v5
	v_subrev_u32_e32 v5, s28, v1
	v_cmp_le_u32_e64 s[0:1], s28, v1
	v_cndmask_b32_e64 v1, v1, v5, s[0:1]
	v_subrev_u32_e32 v5, s28, v1
	v_cmp_le_u32_e64 s[0:1], s28, v1
	v_cndmask_b32_e64 v1, v1, v5, s[0:1]
	v_xor_b32_e32 v1, v1, v4
	v_sub_u32_e32 v1, v1, v4
	v_cmp_gt_i32_e64 s[0:1], s38, v1
	v_add_u32_e32 v1, 0x200, v12
	v_sub_u32_e32 v4, 0, v1
	v_max_i32_e32 v48, v1, v4
	v_mad_u64_u32 v[6:7], s[2:3], v48, v69, 0
	s_movk_i32 s2, 0x1000
	v_add_co_u32_e64 v4, s[2:3], s2, v2
	v_addc_co_u32_e64 v5, s[2:3], 0, v3, s[2:3]
	s_movk_i32 s2, 0x2000
	v_add_co_u32_e64 v8, s[2:3], s2, v2
	v_addc_co_u32_e64 v9, s[2:3], 0, v3, s[2:3]
	global_load_dword v37, v[8:9], off
	global_load_dword v36, v[8:9], off offset:1024
	global_load_dword v35, v[8:9], off offset:2048
	;; [unrolled: 1-line block ×3, first 2 shown]
	s_movk_i32 s2, 0x3000
	v_add_co_u32_e64 v10, s[2:3], s2, v2
	v_ashrrev_i32_e32 v46, 31, v1
	v_addc_co_u32_e64 v11, s[2:3], 0, v3, s[2:3]
	global_load_dword v45, v13, s[50:51] offset:1024
	global_load_dword v44, v13, s[50:51] offset:2048
	;; [unrolled: 1-line block ×3, first 2 shown]
	global_load_dword v41, v[4:5], off offset:1024
	global_load_dword v40, v[4:5], off offset:2048
	;; [unrolled: 1-line block ×3, first 2 shown]
	global_load_dword v34, v[10:11], off
	global_load_dword v32, v[10:11], off offset:1024
	global_load_dword v6, v[10:11], off offset:2048
	global_load_dword v43, v[8:9], off offset:-4096
	global_load_dword v1, v[10:11], off offset:3072
	v_add_u32_e32 v4, 0x300, v12
	v_sub_u32_e32 v5, 0, v4
	v_ashrrev_i32_e32 v66, 31, v4
	v_max_i32_e32 v68, v4, v5
	v_add_u32_e32 v4, 0x400, v12
	v_sub_u32_e32 v5, 0, v4
	v_ashrrev_i32_e32 v64, 31, v4
	v_max_i32_e32 v67, v4, v5
	;; [unrolled: 4-line block ×10, first 2 shown]
	v_add_u32_e32 v4, 0xd00, v12
	v_mad_u64_u32 v[28:29], s[2:3], v67, v69, 0
	v_sub_u32_e32 v5, 0, v4
	v_ashrrev_i32_e32 v28, 31, v4
	v_max_i32_e32 v49, v4, v5
	v_add_u32_e32 v4, 0xe00, v12
	v_mad_u64_u32 v[30:31], s[2:3], v68, v69, 0
	v_mad_u64_u32 v[22:23], s[2:3], v62, v69, 0
	v_sub_u32_e32 v5, 0, v4
	v_ashrrev_i32_e32 v22, 31, v4
	v_max_i32_e32 v30, v4, v5
	v_add_u32_e32 v4, 0xf00, v12
	v_mad_u64_u32 v[26:27], s[2:3], v65, v69, 0
	v_sub_u32_e32 v5, 0, v4
	v_mad_u64_u32 v[18:19], s[2:3], v61, v69, 0
	v_max_i32_e32 v26, v4, v5
	v_ashrrev_i32_e32 v18, 31, v4
	v_mad_u64_u32 v[4:5], s[2:3], v26, v69, 0
	v_cndmask_b32_e64 v38, 0, 1, s[0:1]
	v_mad_u64_u32 v[24:25], s[2:3], v59, v69, 0
	v_mad_u64_u32 v[20:21], s[2:3], v57, v69, 0
	;; [unrolled: 1-line block ×7, first 2 shown]
	s_waitcnt vmcnt(10)
	v_mov_b32_e32 v4, v45
	s_and_saveexec_b64 s[4:5], vcc
	s_cbranch_execz .LBB30_7
; %bb.6:
	global_load_dword v2, v[2:3], off
	v_mov_b32_e32 v38, 1
	s_waitcnt vmcnt(0)
	v_cmp_lt_f32_e32 vcc, v45, v2
	v_cmp_lt_f32_e64 s[2:3], v2, v45
	s_and_b64 vcc, s[0:1], vcc
	v_cndmask_b32_e32 v3, v2, v45, vcc
	s_and_b64 vcc, s[0:1], s[2:3]
	v_cndmask_b32_e32 v4, v2, v45, vcc
	v_mov_b32_e32 v45, v3
.LBB30_7:
	s_or_b64 exec, exec, s[4:5]
	v_mul_lo_u32 v2, v7, s28
	v_sub_u32_e32 v2, v48, v2
	v_subrev_u32_e32 v3, s28, v2
	v_cmp_le_u32_e32 vcc, s28, v2
	v_cndmask_b32_e32 v2, v2, v3, vcc
	v_subrev_u32_e32 v3, s28, v2
	v_cmp_le_u32_e32 vcc, s28, v2
	v_cndmask_b32_e32 v2, v2, v3, vcc
	v_mul_lo_u32 v3, v31, s28
	v_sub_u32_e32 v3, v68, v3
	v_subrev_u32_e32 v7, s28, v3
	v_cmp_le_u32_e32 vcc, s28, v3
	v_cndmask_b32_e32 v3, v3, v7, vcc
	v_subrev_u32_e32 v7, s28, v3
	v_cmp_le_u32_e32 vcc, s28, v3
	v_cndmask_b32_e32 v3, v3, v7, vcc
	;; [unrolled: 8-line block ×4, first 2 shown]
	v_mul_lo_u32 v10, v23, s28
	v_sub_u32_e32 v10, v62, v10
	v_subrev_u32_e32 v12, s28, v10
	v_cmp_le_u32_e64 s[0:1], s28, v10
	v_cndmask_b32_e64 v10, v10, v12, s[0:1]
	v_subrev_u32_e32 v12, s28, v10
	v_cmp_le_u32_e64 s[0:1], s28, v10
	v_cndmask_b32_e64 v10, v10, v12, s[0:1]
	v_mul_lo_u32 v12, v19, s28
	v_sub_u32_e32 v12, v61, v12
	v_subrev_u32_e32 v14, s28, v12
	v_cmp_le_u32_e64 s[2:3], s28, v12
	v_cndmask_b32_e64 v12, v12, v14, s[2:3]
	v_subrev_u32_e32 v14, s28, v12
	v_cmp_le_u32_e64 s[2:3], s28, v12
	v_cndmask_b32_e64 v12, v12, v14, s[2:3]
	;; [unrolled: 8-line block ×3, first 2 shown]
	v_mul_lo_u32 v16, v21, s28
	v_sub_u32_e32 v16, v57, v16
	v_subrev_u32_e32 v19, s28, v16
	v_cmp_le_u32_e64 s[8:9], s28, v16
	v_cndmask_b32_e64 v16, v16, v19, s[8:9]
	v_mul_lo_u32 v17, v17, s28
	v_subrev_u32_e32 v19, s28, v16
	v_cmp_le_u32_e64 s[8:9], s28, v16
	v_sub_u32_e32 v17, v55, v17
	v_cndmask_b32_e64 v16, v16, v19, s[8:9]
	v_subrev_u32_e32 v19, s28, v17
	v_cmp_le_u32_e64 s[10:11], s28, v17
	v_cndmask_b32_e64 v17, v17, v19, s[10:11]
	v_mul_lo_u32 v15, v15, s28
	v_subrev_u32_e32 v19, s28, v17
	v_cmp_le_u32_e64 s[10:11], s28, v17
	v_sub_u32_e32 v15, v53, v15
	v_cndmask_b32_e64 v17, v17, v19, s[10:11]
	;; [unrolled: 8-line block ×6, first 2 shown]
	v_subrev_u32_e32 v19, s28, v5
	v_cmp_le_u32_e64 s[20:21], s28, v5
	v_cndmask_b32_e64 v5, v5, v19, s[20:21]
	v_xor_b32_e32 v2, v2, v46
	v_subrev_u32_e32 v19, s28, v5
	v_cmp_le_u32_e64 s[20:21], s28, v5
	v_sub_u32_e32 v2, v2, v46
	v_cndmask_b32_e64 v5, v5, v19, s[20:21]
	v_cmp_gt_i32_e64 s[26:27], s38, v2
	v_xor_b32_e32 v5, v5, v18
	s_waitcnt vmcnt(9)
	v_cmp_lt_f32_e64 s[28:29], v4, v44
	v_cmp_lt_f32_e64 s[30:31], v44, v45
	v_cndmask_b32_e64 v2, 0, 1, s[26:27]
	v_sub_u32_e32 v5, v5, v18
	v_and_b32_e32 v18, 1, v38
	v_cndmask_b32_e64 v19, v38, 1, s[26:27]
	s_and_b64 s[30:31], s[26:27], s[30:31]
	s_and_b64 s[26:27], s[26:27], s[28:29]
	v_xor_b32_e32 v3, v3, v66
	v_cmp_eq_u32_e64 s[34:35], 1, v18
	v_cndmask_b32_e64 v18, v45, v44, s[30:31]
	v_cndmask_b32_e64 v4, v4, v44, s[26:27]
	v_sub_u32_e32 v3, v3, v66
	v_cndmask_b32_e64 v2, v2, v19, s[34:35]
	v_cndmask_b32_e64 v18, v44, v18, s[34:35]
	;; [unrolled: 1-line block ×3, first 2 shown]
	v_cmp_gt_i32_e64 s[24:25], s38, v3
	v_and_b32_e32 v19, 1, v2
	s_waitcnt vmcnt(8)
	v_cmp_lt_f32_e64 s[26:27], v4, v42
	v_cmp_lt_f32_e64 s[28:29], v42, v18
	v_cndmask_b32_e64 v3, 0, 1, s[24:25]
	v_cndmask_b32_e64 v2, v2, 1, s[24:25]
	v_cmp_eq_u32_e64 s[30:31], 1, v19
	s_and_b64 s[28:29], s[24:25], s[28:29]
	s_and_b64 s[24:25], s[24:25], s[26:27]
	v_xor_b32_e32 v7, v7, v64
	v_cndmask_b32_e64 v2, v3, v2, s[30:31]
	v_cndmask_b32_e64 v3, v18, v42, s[28:29]
	;; [unrolled: 1-line block ×3, first 2 shown]
	v_sub_u32_e32 v7, v7, v64
	v_cndmask_b32_e64 v3, v42, v3, s[30:31]
	v_cndmask_b32_e64 v4, v42, v4, s[30:31]
	v_cmp_gt_i32_e64 s[22:23], s38, v7
	s_waitcnt vmcnt(1)
	v_cmp_lt_f32_e64 s[24:25], v4, v43
	v_cmp_lt_f32_e64 s[26:27], v43, v3
	v_cndmask_b32_e64 v7, 0, 1, s[22:23]
	v_and_b32_e32 v18, 1, v2
	v_cndmask_b32_e64 v2, v2, 1, s[22:23]
	s_and_b64 s[26:27], s[22:23], s[26:27]
	s_and_b64 s[22:23], s[22:23], s[24:25]
	v_xor_b32_e32 v8, v8, v63
	v_cmp_eq_u32_e64 s[28:29], 1, v18
	v_cndmask_b32_e64 v3, v3, v43, s[26:27]
	v_cndmask_b32_e64 v4, v4, v43, s[22:23]
	v_sub_u32_e32 v8, v8, v63
	v_cndmask_b32_e64 v3, v43, v3, s[28:29]
	v_cndmask_b32_e64 v4, v43, v4, s[28:29]
	v_cmp_gt_i32_e32 vcc, s38, v8
	v_cndmask_b32_e64 v2, v7, v2, s[28:29]
	v_cmp_lt_f32_e64 s[22:23], v4, v41
	v_cmp_lt_f32_e64 s[24:25], v41, v3
	v_cndmask_b32_e64 v8, 0, 1, vcc
	v_and_b32_e32 v7, 1, v2
	v_cndmask_b32_e64 v2, v2, 1, vcc
	s_and_b64 s[24:25], vcc, s[24:25]
	s_and_b64 vcc, vcc, s[22:23]
	v_xor_b32_e32 v10, v10, v60
	v_cmp_eq_u32_e64 s[26:27], 1, v7
	v_cndmask_b32_e64 v3, v3, v41, s[24:25]
	v_cndmask_b32_e32 v4, v4, v41, vcc
	v_sub_u32_e32 v10, v10, v60
	v_cndmask_b32_e64 v3, v41, v3, s[26:27]
	v_cndmask_b32_e64 v4, v41, v4, s[26:27]
	v_cmp_gt_i32_e64 s[0:1], s38, v10
	v_cndmask_b32_e64 v2, v8, v2, s[26:27]
	v_cmp_lt_f32_e32 vcc, v4, v40
	v_cmp_lt_f32_e64 s[22:23], v40, v3
	v_and_b32_e32 v7, 1, v2
	s_and_b64 s[22:23], s[0:1], s[22:23]
	s_and_b64 vcc, s[0:1], vcc
	v_xor_b32_e32 v12, v12, v58
	v_cmp_eq_u32_e64 s[24:25], 1, v7
	v_cndmask_b32_e64 v3, v3, v40, s[22:23]
	v_cndmask_b32_e32 v4, v4, v40, vcc
	v_cndmask_b32_e64 v10, 0, 1, s[0:1]
	v_sub_u32_e32 v12, v12, v58
	v_cndmask_b32_e64 v2, v2, 1, s[0:1]
	v_cndmask_b32_e64 v3, v40, v3, s[24:25]
	v_cndmask_b32_e64 v4, v40, v4, s[24:25]
	v_cmp_gt_i32_e64 s[2:3], s38, v12
	v_cndmask_b32_e64 v2, v10, v2, s[24:25]
	v_cmp_lt_f32_e32 vcc, v4, v39
	v_cmp_lt_f32_e64 s[0:1], v39, v3
	v_and_b32_e32 v7, 1, v2
	s_and_b64 s[0:1], s[2:3], s[0:1]
	s_and_b64 vcc, s[2:3], vcc
	v_xor_b32_e32 v14, v14, v56
	v_cmp_eq_u32_e64 s[22:23], 1, v7
	v_cndmask_b32_e64 v3, v3, v39, s[0:1]
	v_cndmask_b32_e32 v4, v4, v39, vcc
	v_cndmask_b32_e64 v12, 0, 1, s[2:3]
	v_sub_u32_e32 v14, v14, v56
	v_cndmask_b32_e64 v2, v2, 1, s[2:3]
	;; [unrolled: 16-line block ×8, first 2 shown]
	v_cndmask_b32_e64 v3, v32, v3, s[2:3]
	v_cndmask_b32_e64 v4, v32, v4, s[2:3]
	v_cmp_gt_i32_e64 s[18:19], s38, v9
	v_cndmask_b32_e64 v2, v11, v2, s[2:3]
	v_cmp_lt_f32_e32 vcc, v4, v6
	v_cmp_lt_f32_e64 s[0:1], v6, v3
	v_and_b32_e32 v7, 1, v2
	s_and_b64 s[0:1], s[18:19], s[0:1]
	s_and_b64 vcc, s[18:19], vcc
	v_cndmask_b32_e64 v9, 0, 1, s[18:19]
	v_cndmask_b32_e64 v2, v2, 1, s[18:19]
	v_cmp_eq_u32_e64 s[2:3], 1, v7
	v_cndmask_b32_e64 v3, v3, v6, s[0:1]
	v_cndmask_b32_e32 v4, v4, v6, vcc
	v_cndmask_b32_e64 v2, v9, v2, s[2:3]
	v_cndmask_b32_e64 v3, v6, v3, s[2:3]
	;; [unrolled: 1-line block ×3, first 2 shown]
	v_cmp_gt_i32_e64 s[20:21], s38, v5
	v_and_b32_e32 v6, 1, v2
	s_waitcnt vmcnt(0)
	v_cmp_lt_f32_e32 vcc, v4, v1
	v_cmp_lt_f32_e64 s[0:1], v1, v3
	v_cndmask_b32_e64 v5, 0, 1, s[20:21]
	v_cndmask_b32_e64 v2, v2, 1, s[20:21]
	v_cmp_eq_u32_e64 s[2:3], 1, v6
	s_and_b64 s[0:1], s[20:21], s[0:1]
	s_and_b64 vcc, s[20:21], vcc
	v_cndmask_b32_e64 v6, v5, v2, s[2:3]
	v_cndmask_b32_e64 v2, v3, v1, s[0:1]
	v_cndmask_b32_e32 v3, v4, v1, vcc
	v_cndmask_b32_e64 v3, v1, v3, s[2:3]
	v_cndmask_b32_e64 v2, v1, v2, s[2:3]
	v_and_b32_e32 v1, 0xff, v6
	v_mov_b32_dpp v5, v3 quad_perm:[1,0,3,2] row_mask:0xf bank_mask:0xf bound_ctrl:1
	v_mov_b32_dpp v4, v2 quad_perm:[1,0,3,2] row_mask:0xf bank_mask:0xf bound_ctrl:1
	;; [unrolled: 1-line block ×3, first 2 shown]
	v_and_b32_e32 v7, 1, v1
	v_cmp_eq_u32_e32 vcc, 1, v7
	s_and_saveexec_b64 s[0:1], vcc
	s_xor_b64 s[0:1], exec, s[0:1]
	s_cbranch_execz .LBB30_11
; %bb.8:
	v_and_b32_e32 v6, 1, v6
	v_cmp_eq_u32_e32 vcc, 1, v6
	s_and_saveexec_b64 s[2:3], vcc
; %bb.9:
	v_cmp_gt_f32_e32 vcc, v3, v5
	v_cndmask_b32_e32 v5, v5, v3, vcc
	v_cmp_lt_f32_e32 vcc, v2, v4
	v_cndmask_b32_e32 v4, v4, v2, vcc
	v_mov_b32_e32 v1, 1
; %bb.10:
	s_or_b64 exec, exec, s[2:3]
	v_mov_b32_e32 v6, v1
	v_pk_mov_b32 v[2:3], v[4:5], v[4:5] op_sel:[0,1]
.LBB30_11:
	s_or_b64 exec, exec, s[0:1]
	v_and_b32_e32 v1, 0xff, v6
	v_mov_b32_dpp v4, v2 quad_perm:[2,3,0,1] row_mask:0xf bank_mask:0xf bound_ctrl:1
	v_mov_b32_dpp v5, v3 quad_perm:[2,3,0,1] row_mask:0xf bank_mask:0xf bound_ctrl:1
	;; [unrolled: 1-line block ×3, first 2 shown]
	v_and_b32_e32 v7, 1, v1
	v_cmp_eq_u32_e32 vcc, 1, v7
	s_and_saveexec_b64 s[0:1], vcc
	s_cbranch_execz .LBB30_15
; %bb.12:
	v_and_b32_e32 v6, 1, v6
	v_cmp_eq_u32_e32 vcc, 1, v6
	s_and_saveexec_b64 s[2:3], vcc
; %bb.13:
	v_cmp_lt_f32_e32 vcc, v5, v3
	v_cndmask_b32_e32 v5, v5, v3, vcc
	v_cmp_lt_f32_e32 vcc, v2, v4
	v_cndmask_b32_e32 v4, v4, v2, vcc
	v_mov_b32_e32 v1, 1
; %bb.14:
	s_or_b64 exec, exec, s[2:3]
	v_mov_b32_e32 v6, v1
	v_pk_mov_b32 v[2:3], v[4:5], v[4:5] op_sel:[0,1]
.LBB30_15:
	s_or_b64 exec, exec, s[0:1]
	v_and_b32_e32 v1, 0xff, v6
	v_mov_b32_dpp v4, v2 row_ror:4 row_mask:0xf bank_mask:0xf bound_ctrl:1
	v_mov_b32_dpp v5, v3 row_ror:4 row_mask:0xf bank_mask:0xf bound_ctrl:1
	;; [unrolled: 1-line block ×3, first 2 shown]
	v_and_b32_e32 v7, 1, v1
	v_cmp_eq_u32_e32 vcc, 1, v7
	s_and_saveexec_b64 s[0:1], vcc
	s_cbranch_execz .LBB30_19
; %bb.16:
	v_and_b32_e32 v6, 1, v6
	v_cmp_eq_u32_e32 vcc, 1, v6
	s_and_saveexec_b64 s[2:3], vcc
; %bb.17:
	v_cmp_lt_f32_e32 vcc, v5, v3
	v_cndmask_b32_e32 v5, v5, v3, vcc
	v_cmp_lt_f32_e32 vcc, v2, v4
	v_cndmask_b32_e32 v4, v4, v2, vcc
	v_mov_b32_e32 v1, 1
; %bb.18:
	s_or_b64 exec, exec, s[2:3]
	v_mov_b32_e32 v6, v1
	v_pk_mov_b32 v[2:3], v[4:5], v[4:5] op_sel:[0,1]
.LBB30_19:
	s_or_b64 exec, exec, s[0:1]
	v_and_b32_e32 v1, 0xff, v6
	v_mov_b32_dpp v4, v2 row_ror:8 row_mask:0xf bank_mask:0xf bound_ctrl:1
	v_mov_b32_dpp v5, v3 row_ror:8 row_mask:0xf bank_mask:0xf bound_ctrl:1
	;; [unrolled: 1-line block ×3, first 2 shown]
	v_and_b32_e32 v7, 1, v1
	v_cmp_eq_u32_e32 vcc, 1, v7
	s_and_saveexec_b64 s[0:1], vcc
	s_cbranch_execz .LBB30_23
; %bb.20:
	v_and_b32_e32 v6, 1, v6
	v_cmp_eq_u32_e32 vcc, 1, v6
	s_and_saveexec_b64 s[2:3], vcc
; %bb.21:
	v_cmp_lt_f32_e32 vcc, v5, v3
	v_cndmask_b32_e32 v5, v5, v3, vcc
	v_cmp_lt_f32_e32 vcc, v2, v4
	v_cndmask_b32_e32 v4, v4, v2, vcc
	v_mov_b32_e32 v1, 1
; %bb.22:
	s_or_b64 exec, exec, s[2:3]
	v_mov_b32_e32 v6, v1
	v_pk_mov_b32 v[2:3], v[4:5], v[4:5] op_sel:[0,1]
.LBB30_23:
	s_or_b64 exec, exec, s[0:1]
	v_and_b32_e32 v1, 0xff, v6
	v_mov_b32_dpp v4, v2 row_bcast:15 row_mask:0xf bank_mask:0xf bound_ctrl:1
	v_mov_b32_dpp v5, v3 row_bcast:15 row_mask:0xf bank_mask:0xf bound_ctrl:1
	;; [unrolled: 1-line block ×3, first 2 shown]
	v_and_b32_e32 v7, 1, v1
	v_cmp_eq_u32_e32 vcc, 1, v7
	s_and_saveexec_b64 s[0:1], vcc
	s_cbranch_execz .LBB30_27
; %bb.24:
	v_and_b32_e32 v6, 1, v6
	v_cmp_eq_u32_e32 vcc, 1, v6
	s_and_saveexec_b64 s[2:3], vcc
; %bb.25:
	v_cmp_lt_f32_e32 vcc, v5, v3
	v_cndmask_b32_e32 v5, v5, v3, vcc
	v_cmp_lt_f32_e32 vcc, v2, v4
	v_cndmask_b32_e32 v4, v4, v2, vcc
	v_mov_b32_e32 v1, 1
; %bb.26:
	s_or_b64 exec, exec, s[2:3]
	v_mov_b32_e32 v6, v1
	v_pk_mov_b32 v[2:3], v[4:5], v[4:5] op_sel:[0,1]
.LBB30_27:
	s_or_b64 exec, exec, s[0:1]
	v_and_b32_e32 v1, 0xff, v6
	v_mov_b32_dpp v4, v2 row_bcast:31 row_mask:0xf bank_mask:0xf bound_ctrl:1
	v_mov_b32_dpp v5, v3 row_bcast:31 row_mask:0xf bank_mask:0xf bound_ctrl:1
	;; [unrolled: 1-line block ×3, first 2 shown]
	v_and_b32_e32 v7, 1, v1
	v_cmp_eq_u32_e32 vcc, 1, v7
	s_and_saveexec_b64 s[0:1], vcc
	s_cbranch_execz .LBB30_31
; %bb.28:
	v_and_b32_e32 v6, 1, v6
	v_cmp_eq_u32_e32 vcc, 1, v6
	s_and_saveexec_b64 s[2:3], vcc
; %bb.29:
	v_cmp_lt_f32_e32 vcc, v5, v3
	v_cndmask_b32_e32 v5, v5, v3, vcc
	v_cmp_lt_f32_e32 vcc, v2, v4
	v_cndmask_b32_e32 v4, v4, v2, vcc
	v_mov_b32_e32 v1, 1
; %bb.30:
	s_or_b64 exec, exec, s[2:3]
	v_mov_b32_e32 v6, v1
	v_pk_mov_b32 v[2:3], v[4:5], v[4:5] op_sel:[0,1]
.LBB30_31:
	s_or_b64 exec, exec, s[0:1]
	v_mbcnt_lo_u32_b32 v1, -1, 0
	v_mbcnt_hi_u32_b32 v1, -1, v1
	v_bfrev_b32_e32 v5, 0.5
	v_and_b32_e32 v4, 0xff, v6
	v_lshl_or_b32 v5, v1, 2, v5
	ds_bpermute_b32 v9, v5, v4
	ds_bpermute_b32 v2, v5, v2
	;; [unrolled: 1-line block ×3, first 2 shown]
	v_cmp_eq_u32_e32 vcc, 0, v1
	s_and_saveexec_b64 s[0:1], vcc
	s_cbranch_execz .LBB30_33
; %bb.32:
	v_lshrrev_b32_e32 v4, 6, v0
	v_mul_u32_u24_e32 v4, 12, v4
	s_waitcnt lgkmcnt(2)
	ds_write_b8 v4, v9 offset:48
	s_waitcnt lgkmcnt(1)
	ds_write2_b32 v4, v2, v3 offset0:13 offset1:14
.LBB30_33:
	s_or_b64 exec, exec, s[0:1]
	v_cmp_gt_u32_e32 vcc, 64, v0
	s_waitcnt lgkmcnt(0)
	s_barrier
	s_and_saveexec_b64 s[0:1], vcc
	s_cbranch_execz .LBB30_43
; %bb.34:
	v_and_b32_e32 v7, 3, v1
	v_mul_u32_u24_e32 v2, 12, v7
	ds_read_u8 v8, v2 offset:48
	ds_read2_b32 v[2:3], v2 offset0:13 offset1:14
	v_cmp_ne_u32_e32 vcc, 3, v7
	v_addc_co_u32_e32 v4, vcc, 0, v1, vcc
	s_waitcnt lgkmcnt(1)
	v_and_b32_e32 v5, 0xff, v8
	v_lshlrev_b32_e32 v9, 2, v4
	ds_bpermute_b32 v6, v9, v5
	s_waitcnt lgkmcnt(1)
	ds_bpermute_b32 v4, v9, v2
	ds_bpermute_b32 v5, v9, v3
	v_and_b32_e32 v9, 1, v8
	v_cmp_eq_u32_e32 vcc, 1, v9
	s_and_saveexec_b64 s[2:3], vcc
	s_cbranch_execz .LBB30_38
; %bb.35:
	s_waitcnt lgkmcnt(2)
	v_and_b32_e32 v6, 1, v6
	v_cmp_eq_u32_e32 vcc, 1, v6
	s_and_saveexec_b64 s[4:5], vcc
	s_cbranch_execz .LBB30_37
; %bb.36:
	s_waitcnt lgkmcnt(0)
	v_cmp_gt_f32_e32 vcc, v5, v3
	v_cndmask_b32_e32 v3, v3, v5, vcc
	v_cmp_gt_f32_e32 vcc, v2, v4
	v_cndmask_b32_e32 v2, v2, v4, vcc
	v_mov_b32_e32 v8, 1
.LBB30_37:
	s_or_b64 exec, exec, s[4:5]
	v_mov_b32_e32 v6, v8
	s_waitcnt lgkmcnt(0)
	v_pk_mov_b32 v[4:5], v[2:3], v[2:3] op_sel:[0,1]
.LBB30_38:
	s_or_b64 exec, exec, s[2:3]
	v_cmp_gt_u32_e32 vcc, 2, v7
	v_cndmask_b32_e64 v3, 0, 1, vcc
	v_lshlrev_b32_e32 v3, 1, v3
	s_waitcnt lgkmcnt(2)
	v_and_b32_e32 v2, 0xff, v6
	v_add_lshl_u32 v3, v3, v1, 2
	ds_bpermute_b32 v1, v3, v2
	s_waitcnt lgkmcnt(2)
	ds_bpermute_b32 v2, v3, v4
	s_waitcnt lgkmcnt(2)
	ds_bpermute_b32 v3, v3, v5
	v_and_b32_e32 v7, 1, v6
	v_cmp_eq_u32_e32 vcc, 1, v7
	s_and_saveexec_b64 s[2:3], vcc
	s_cbranch_execz .LBB30_42
; %bb.39:
	s_waitcnt lgkmcnt(2)
	v_and_b32_e32 v1, 1, v1
	v_cmp_eq_u32_e32 vcc, 1, v1
	s_and_saveexec_b64 s[4:5], vcc
	s_cbranch_execz .LBB30_41
; %bb.40:
	s_waitcnt lgkmcnt(0)
	v_cmp_gt_f32_e32 vcc, v3, v5
	v_cndmask_b32_e32 v5, v5, v3, vcc
	v_cmp_gt_f32_e32 vcc, v4, v2
	v_cndmask_b32_e32 v4, v4, v2, vcc
	v_mov_b32_e32 v6, 1
.LBB30_41:
	s_or_b64 exec, exec, s[4:5]
	v_mov_b32_e32 v1, v6
	s_waitcnt lgkmcnt(0)
	v_pk_mov_b32 v[2:3], v[4:5], v[4:5] op_sel:[0,1]
.LBB30_42:
	s_or_b64 exec, exec, s[2:3]
	s_waitcnt lgkmcnt(2)
	v_and_b32_e32 v9, 0xff, v1
.LBB30_43:
	s_or_b64 exec, exec, s[0:1]
	s_mov_b64 s[0:1], 0
	s_branch .LBB30_91
.LBB30_44:
	s_mov_b64 s[18:19], 0
                                        ; implicit-def: $vgpr4_vgpr5
                                        ; implicit-def: $vgpr1
	s_cbranch_execnz .LBB30_525
	s_branch .LBB30_680
.LBB30_45:
	s_mov_b64 s[18:19], 0
                                        ; implicit-def: $vgpr4_vgpr5
                                        ; implicit-def: $vgpr1
	s_cbranch_execnz .LBB30_395
	s_branch .LBB30_437
.LBB30_46:
	s_mov_b64 s[48:49], -1
.LBB30_47:
	s_mov_b64 s[18:19], 0
                                        ; implicit-def: $vgpr4_vgpr5
                                        ; implicit-def: $vgpr1
	s_and_b64 vcc, exec, s[48:49]
	s_cbranch_vccz .LBB30_298
.LBB30_48:
	s_cmp_eq_u32 s46, 8
	s_cbranch_scc0 .LBB30_89
; %bb.49:
	s_mov_b32 s7, 0
	s_lshl_b32 s22, s6, 11
	s_mov_b32 s23, s7
	s_lshr_b64 s[0:1], s[40:41], 11
	s_add_i32 s24, s47, s22
	s_lshl_b64 s[2:3], s[22:23], 2
	s_add_u32 s20, s36, s2
	s_addc_u32 s21, s37, s3
	s_cmp_lg_u64 s[0:1], s[6:7]
	s_cbranch_scc0 .LBB30_138
; %bb.50:
	s_waitcnt lgkmcnt(2)
	v_lshlrev_b32_e32 v6, 2, v0
	v_mov_b32_e32 v1, s21
	s_waitcnt lgkmcnt(1)
	v_add_co_u32_e32 v2, vcc, s20, v6
	s_waitcnt lgkmcnt(0)
	v_addc_co_u32_e32 v3, vcc, 0, v1, vcc
	s_movk_i32 s0, 0x1000
	v_add_co_u32_e32 v4, vcc, s0, v2
	v_addc_co_u32_e32 v5, vcc, 0, v3, vcc
	global_load_dword v21, v6, s[20:21] offset:1024
	global_load_dword v20, v6, s[20:21] offset:2048
	;; [unrolled: 1-line block ×3, first 2 shown]
	global_load_dword v18, v[4:5], off
	global_load_dword v17, v[4:5], off offset:1024
	global_load_dword v16, v[4:5], off offset:2048
	;; [unrolled: 1-line block ×3, first 2 shown]
	s_abs_i32 s12, s39
	v_cvt_f32_u32_e32 v7, s12
	s_sub_i32 s0, 0, s12
	v_add_u32_e32 v5, s24, v0
	v_ashrrev_i32_e32 v6, 31, v5
	v_rcp_iflag_f32_e32 v4, v7
	v_sub_u32_e32 v7, 0, v5
	v_max_i32_e32 v7, v5, v7
	v_mul_f32_e32 v4, 0x4f7ffffe, v4
	v_cvt_u32_f32_e32 v4, v4
	v_mul_lo_u32 v8, s0, v4
	v_mul_hi_u32 v8, v4, v8
	v_add_u32_e32 v4, v4, v8
	v_mul_hi_u32 v8, v7, v4
	v_mul_lo_u32 v8, v8, s12
	v_sub_u32_e32 v7, v7, v8
	v_subrev_u32_e32 v8, s12, v7
	v_cmp_le_u32_e32 vcc, s12, v7
	v_cndmask_b32_e32 v7, v7, v8, vcc
	v_subrev_u32_e32 v8, s12, v7
	v_cmp_le_u32_e32 vcc, s12, v7
	v_cndmask_b32_e32 v7, v7, v8, vcc
	v_xor_b32_e32 v7, v7, v6
	v_sub_u32_e32 v6, v7, v6
	v_cmp_gt_i32_e64 s[0:1], s38, v6
	v_add_u32_e32 v6, 0x100, v5
	v_sub_u32_e32 v8, 0, v6
	v_ashrrev_i32_e32 v7, 31, v6
	v_max_i32_e32 v6, v6, v8
	v_mul_hi_u32 v8, v6, v4
	v_mul_lo_u32 v8, v8, s12
	v_sub_u32_e32 v6, v6, v8
	v_subrev_u32_e32 v8, s12, v6
	v_cmp_le_u32_e32 vcc, s12, v6
	v_cndmask_b32_e32 v6, v6, v8, vcc
	v_subrev_u32_e32 v8, s12, v6
	v_cmp_le_u32_e32 vcc, s12, v6
	v_cndmask_b32_e32 v6, v6, v8, vcc
	v_xor_b32_e32 v6, v6, v7
	v_sub_u32_e32 v6, v6, v7
	v_cmp_gt_i32_e32 vcc, s38, v6
	v_add_u32_e32 v6, 0x200, v5
	v_sub_u32_e32 v7, 0, v6
	v_ashrrev_i32_e32 v27, 31, v6
	v_max_i32_e32 v29, v6, v7
	v_add_u32_e32 v6, 0x300, v5
	v_sub_u32_e32 v7, 0, v6
	v_ashrrev_i32_e32 v25, 31, v6
	v_max_i32_e32 v28, v6, v7
	;; [unrolled: 4-line block ×3, first 2 shown]
	v_add_u32_e32 v6, 0x500, v5
	v_mad_u64_u32 v[12:13], s[2:3], v28, v4, 0
	v_sub_u32_e32 v7, 0, v6
	v_ashrrev_i32_e32 v12, 31, v6
	v_max_i32_e32 v24, v6, v7
	v_add_u32_e32 v6, 0x600, v5
	v_mad_u64_u32 v[14:15], s[2:3], v29, v4, 0
	v_mad_u64_u32 v[10:11], s[2:3], v26, v4, 0
	v_sub_u32_e32 v7, 0, v6
	v_add_u32_e32 v5, 0x700, v5
	v_mad_u64_u32 v[8:9], s[2:3], v24, v4, 0
	v_max_i32_e32 v14, v6, v7
	v_sub_u32_e32 v10, 0, v5
	v_ashrrev_i32_e32 v8, 31, v6
	v_mad_u64_u32 v[6:7], s[2:3], v14, v4, 0
	v_max_i32_e32 v10, v5, v10
	v_ashrrev_i32_e32 v6, 31, v5
	v_mad_u64_u32 v[4:5], s[2:3], v10, v4, 0
	v_cndmask_b32_e64 v22, 0, 1, vcc
	s_waitcnt vmcnt(6)
	v_mov_b32_e32 v4, v21
	s_and_saveexec_b64 s[4:5], s[0:1]
	s_cbranch_execz .LBB30_52
; %bb.51:
	global_load_dword v2, v[2:3], off
	v_mov_b32_e32 v22, 1
	s_waitcnt vmcnt(0)
	v_cmp_lt_f32_e64 s[0:1], v21, v2
	v_cmp_lt_f32_e64 s[2:3], v2, v21
	s_and_b64 s[0:1], vcc, s[0:1]
	v_cndmask_b32_e64 v3, v2, v21, s[0:1]
	s_and_b64 vcc, vcc, s[2:3]
	v_cndmask_b32_e32 v4, v2, v21, vcc
	v_mov_b32_e32 v21, v3
.LBB30_52:
	s_or_b64 exec, exec, s[4:5]
	v_mul_lo_u32 v2, v15, s12
	v_sub_u32_e32 v2, v29, v2
	v_subrev_u32_e32 v3, s12, v2
	v_cmp_le_u32_e32 vcc, s12, v2
	v_cndmask_b32_e32 v2, v2, v3, vcc
	v_subrev_u32_e32 v3, s12, v2
	v_cmp_le_u32_e32 vcc, s12, v2
	v_cndmask_b32_e32 v2, v2, v3, vcc
	v_mul_lo_u32 v3, v13, s12
	v_sub_u32_e32 v3, v28, v3
	v_subrev_u32_e32 v13, s12, v3
	v_cmp_le_u32_e64 s[0:1], s12, v3
	v_cndmask_b32_e64 v3, v3, v13, s[0:1]
	v_mul_lo_u32 v11, v11, s12
	v_subrev_u32_e32 v13, s12, v3
	v_cmp_le_u32_e64 s[0:1], s12, v3
	v_sub_u32_e32 v11, v26, v11
	v_cndmask_b32_e64 v3, v3, v13, s[0:1]
	v_subrev_u32_e32 v13, s12, v11
	v_cmp_le_u32_e64 s[2:3], s12, v11
	v_cndmask_b32_e64 v11, v11, v13, s[2:3]
	v_mul_lo_u32 v9, v9, s12
	v_subrev_u32_e32 v13, s12, v11
	v_cmp_le_u32_e64 s[2:3], s12, v11
	v_sub_u32_e32 v9, v24, v9
	v_cndmask_b32_e64 v11, v11, v13, s[2:3]
	v_subrev_u32_e32 v13, s12, v9
	v_cmp_le_u32_e64 s[4:5], s12, v9
	v_cndmask_b32_e64 v9, v9, v13, s[4:5]
	v_subrev_u32_e32 v13, s12, v9
	v_cmp_le_u32_e64 s[4:5], s12, v9
	v_cndmask_b32_e64 v9, v9, v13, s[4:5]
	v_mul_lo_u32 v7, v7, s12
	v_xor_b32_e32 v9, v9, v12
	v_sub_u32_e32 v7, v14, v7
	v_sub_u32_e32 v9, v9, v12
	v_subrev_u32_e32 v12, s12, v7
	v_cmp_le_u32_e64 s[8:9], s12, v7
	v_cndmask_b32_e64 v7, v7, v12, s[8:9]
	v_subrev_u32_e32 v12, s12, v7
	v_cmp_le_u32_e64 s[8:9], s12, v7
	v_cndmask_b32_e64 v7, v7, v12, s[8:9]
	v_mul_lo_u32 v5, v5, s12
	v_xor_b32_e32 v7, v7, v8
	v_sub_u32_e32 v5, v10, v5
	v_sub_u32_e32 v7, v7, v8
	v_subrev_u32_e32 v8, s12, v5
	v_cmp_le_u32_e64 s[10:11], s12, v5
	v_cndmask_b32_e64 v5, v5, v8, s[10:11]
	v_xor_b32_e32 v2, v2, v27
	v_subrev_u32_e32 v8, s12, v5
	v_cmp_le_u32_e64 s[10:11], s12, v5
	v_sub_u32_e32 v2, v2, v27
	v_cndmask_b32_e64 v5, v5, v8, s[10:11]
	v_cmp_gt_i32_e32 vcc, s38, v2
	v_xor_b32_e32 v5, v5, v6
	s_waitcnt vmcnt(5)
	v_cmp_lt_f32_e64 s[12:13], v4, v20
	v_cmp_lt_f32_e64 s[14:15], v20, v21
	v_cndmask_b32_e64 v2, 0, 1, vcc
	v_sub_u32_e32 v5, v5, v6
	v_and_b32_e32 v6, 1, v22
	v_cndmask_b32_e64 v8, v22, 1, vcc
	s_and_b64 s[14:15], vcc, s[14:15]
	s_and_b64 vcc, vcc, s[12:13]
	v_xor_b32_e32 v3, v3, v25
	v_cmp_eq_u32_e64 s[16:17], 1, v6
	v_cndmask_b32_e64 v6, v21, v20, s[14:15]
	v_cndmask_b32_e32 v4, v4, v20, vcc
	v_sub_u32_e32 v3, v3, v25
	v_cndmask_b32_e64 v2, v2, v8, s[16:17]
	v_cndmask_b32_e64 v6, v20, v6, s[16:17]
	;; [unrolled: 1-line block ×3, first 2 shown]
	v_cmp_gt_i32_e64 s[0:1], s38, v3
	v_and_b32_e32 v8, 1, v2
	s_waitcnt vmcnt(4)
	v_cmp_lt_f32_e32 vcc, v4, v19
	v_cmp_lt_f32_e64 s[12:13], v19, v6
	v_cndmask_b32_e64 v3, 0, 1, s[0:1]
	v_cndmask_b32_e64 v2, v2, 1, s[0:1]
	v_cmp_eq_u32_e64 s[14:15], 1, v8
	s_and_b64 s[12:13], s[0:1], s[12:13]
	s_and_b64 vcc, s[0:1], vcc
	v_xor_b32_e32 v11, v11, v23
	v_cndmask_b32_e64 v2, v3, v2, s[14:15]
	v_cndmask_b32_e64 v3, v6, v19, s[12:13]
	v_cndmask_b32_e32 v4, v4, v19, vcc
	v_sub_u32_e32 v11, v11, v23
	v_cndmask_b32_e64 v3, v19, v3, s[14:15]
	v_cndmask_b32_e64 v4, v19, v4, s[14:15]
	v_cmp_gt_i32_e64 s[2:3], s38, v11
	s_waitcnt vmcnt(3)
	v_cmp_lt_f32_e32 vcc, v4, v18
	v_cmp_lt_f32_e64 s[0:1], v18, v3
	v_and_b32_e32 v6, 1, v2
	s_and_b64 s[0:1], s[2:3], s[0:1]
	s_and_b64 vcc, s[2:3], vcc
	v_cmp_eq_u32_e64 s[12:13], 1, v6
	v_cndmask_b32_e64 v3, v3, v18, s[0:1]
	v_cndmask_b32_e32 v4, v4, v18, vcc
	v_cndmask_b32_e64 v11, 0, 1, s[2:3]
	v_cndmask_b32_e64 v2, v2, 1, s[2:3]
	;; [unrolled: 1-line block ×4, first 2 shown]
	v_cmp_gt_i32_e64 s[4:5], s38, v9
	v_cndmask_b32_e64 v2, v11, v2, s[12:13]
	s_waitcnt vmcnt(2)
	v_cmp_lt_f32_e32 vcc, v4, v17
	v_cmp_lt_f32_e64 s[0:1], v17, v3
	v_and_b32_e32 v6, 1, v2
	s_and_b64 s[0:1], s[4:5], s[0:1]
	s_and_b64 vcc, s[4:5], vcc
	v_cmp_eq_u32_e64 s[2:3], 1, v6
	v_cndmask_b32_e64 v3, v3, v17, s[0:1]
	v_cndmask_b32_e32 v4, v4, v17, vcc
	v_cndmask_b32_e64 v9, 0, 1, s[4:5]
	v_cndmask_b32_e64 v2, v2, 1, s[4:5]
	;; [unrolled: 1-line block ×4, first 2 shown]
	v_cmp_gt_i32_e64 s[8:9], s38, v7
	v_cndmask_b32_e64 v2, v9, v2, s[2:3]
	s_waitcnt vmcnt(1)
	v_cmp_lt_f32_e32 vcc, v4, v16
	v_cmp_lt_f32_e64 s[0:1], v16, v3
	v_and_b32_e32 v6, 1, v2
	s_and_b64 s[0:1], s[8:9], s[0:1]
	s_and_b64 vcc, s[8:9], vcc
	v_cndmask_b32_e64 v7, 0, 1, s[8:9]
	v_cndmask_b32_e64 v2, v2, 1, s[8:9]
	v_cmp_eq_u32_e64 s[2:3], 1, v6
	v_cndmask_b32_e64 v3, v3, v16, s[0:1]
	v_cndmask_b32_e32 v4, v4, v16, vcc
	v_cndmask_b32_e64 v2, v7, v2, s[2:3]
	v_cndmask_b32_e64 v3, v16, v3, s[2:3]
	;; [unrolled: 1-line block ×3, first 2 shown]
	v_cmp_gt_i32_e64 s[10:11], s38, v5
	v_and_b32_e32 v6, 1, v2
	s_waitcnt vmcnt(0)
	v_cmp_lt_f32_e32 vcc, v4, v1
	v_cmp_lt_f32_e64 s[0:1], v1, v3
	v_cndmask_b32_e64 v5, 0, 1, s[10:11]
	v_cndmask_b32_e64 v2, v2, 1, s[10:11]
	v_cmp_eq_u32_e64 s[2:3], 1, v6
	s_and_b64 s[0:1], s[10:11], s[0:1]
	s_and_b64 vcc, s[10:11], vcc
	v_cndmask_b32_e64 v6, v5, v2, s[2:3]
	v_cndmask_b32_e64 v2, v3, v1, s[0:1]
	v_cndmask_b32_e32 v3, v4, v1, vcc
	v_cndmask_b32_e64 v3, v1, v3, s[2:3]
	v_cndmask_b32_e64 v2, v1, v2, s[2:3]
	v_and_b32_e32 v1, 0xff, v6
	v_mov_b32_dpp v5, v3 quad_perm:[1,0,3,2] row_mask:0xf bank_mask:0xf bound_ctrl:1
	v_mov_b32_dpp v4, v2 quad_perm:[1,0,3,2] row_mask:0xf bank_mask:0xf bound_ctrl:1
	;; [unrolled: 1-line block ×3, first 2 shown]
	v_and_b32_e32 v7, 1, v1
	v_cmp_eq_u32_e32 vcc, 1, v7
	s_and_saveexec_b64 s[0:1], vcc
	s_xor_b64 s[0:1], exec, s[0:1]
	s_cbranch_execz .LBB30_56
; %bb.53:
	v_and_b32_e32 v6, 1, v6
	v_cmp_eq_u32_e32 vcc, 1, v6
	s_and_saveexec_b64 s[2:3], vcc
; %bb.54:
	v_cmp_gt_f32_e32 vcc, v3, v5
	v_cndmask_b32_e32 v5, v5, v3, vcc
	v_cmp_lt_f32_e32 vcc, v2, v4
	v_cndmask_b32_e32 v4, v4, v2, vcc
	v_mov_b32_e32 v1, 1
; %bb.55:
	s_or_b64 exec, exec, s[2:3]
	v_mov_b32_e32 v6, v1
	v_pk_mov_b32 v[2:3], v[4:5], v[4:5] op_sel:[0,1]
.LBB30_56:
	s_or_b64 exec, exec, s[0:1]
	v_and_b32_e32 v1, 0xff, v6
	v_mov_b32_dpp v4, v2 quad_perm:[2,3,0,1] row_mask:0xf bank_mask:0xf bound_ctrl:1
	v_mov_b32_dpp v5, v3 quad_perm:[2,3,0,1] row_mask:0xf bank_mask:0xf bound_ctrl:1
	;; [unrolled: 1-line block ×3, first 2 shown]
	v_and_b32_e32 v7, 1, v1
	v_cmp_eq_u32_e32 vcc, 1, v7
	s_and_saveexec_b64 s[0:1], vcc
	s_cbranch_execz .LBB30_60
; %bb.57:
	v_and_b32_e32 v6, 1, v6
	v_cmp_eq_u32_e32 vcc, 1, v6
	s_and_saveexec_b64 s[2:3], vcc
; %bb.58:
	v_cmp_lt_f32_e32 vcc, v5, v3
	v_cndmask_b32_e32 v5, v5, v3, vcc
	v_cmp_lt_f32_e32 vcc, v2, v4
	v_cndmask_b32_e32 v4, v4, v2, vcc
	v_mov_b32_e32 v1, 1
; %bb.59:
	s_or_b64 exec, exec, s[2:3]
	v_mov_b32_e32 v6, v1
	v_pk_mov_b32 v[2:3], v[4:5], v[4:5] op_sel:[0,1]
.LBB30_60:
	s_or_b64 exec, exec, s[0:1]
	v_and_b32_e32 v1, 0xff, v6
	v_mov_b32_dpp v4, v2 row_ror:4 row_mask:0xf bank_mask:0xf bound_ctrl:1
	v_mov_b32_dpp v5, v3 row_ror:4 row_mask:0xf bank_mask:0xf bound_ctrl:1
	;; [unrolled: 1-line block ×3, first 2 shown]
	v_and_b32_e32 v7, 1, v1
	v_cmp_eq_u32_e32 vcc, 1, v7
	s_and_saveexec_b64 s[0:1], vcc
	s_cbranch_execz .LBB30_64
; %bb.61:
	v_and_b32_e32 v6, 1, v6
	v_cmp_eq_u32_e32 vcc, 1, v6
	s_and_saveexec_b64 s[2:3], vcc
; %bb.62:
	v_cmp_lt_f32_e32 vcc, v5, v3
	v_cndmask_b32_e32 v5, v5, v3, vcc
	v_cmp_lt_f32_e32 vcc, v2, v4
	v_cndmask_b32_e32 v4, v4, v2, vcc
	v_mov_b32_e32 v1, 1
; %bb.63:
	s_or_b64 exec, exec, s[2:3]
	v_mov_b32_e32 v6, v1
	v_pk_mov_b32 v[2:3], v[4:5], v[4:5] op_sel:[0,1]
.LBB30_64:
	s_or_b64 exec, exec, s[0:1]
	v_and_b32_e32 v1, 0xff, v6
	v_mov_b32_dpp v4, v2 row_ror:8 row_mask:0xf bank_mask:0xf bound_ctrl:1
	v_mov_b32_dpp v5, v3 row_ror:8 row_mask:0xf bank_mask:0xf bound_ctrl:1
	;; [unrolled: 1-line block ×3, first 2 shown]
	v_and_b32_e32 v7, 1, v1
	v_cmp_eq_u32_e32 vcc, 1, v7
	s_and_saveexec_b64 s[0:1], vcc
	s_cbranch_execz .LBB30_68
; %bb.65:
	v_and_b32_e32 v6, 1, v6
	v_cmp_eq_u32_e32 vcc, 1, v6
	s_and_saveexec_b64 s[2:3], vcc
; %bb.66:
	v_cmp_lt_f32_e32 vcc, v5, v3
	v_cndmask_b32_e32 v5, v5, v3, vcc
	v_cmp_lt_f32_e32 vcc, v2, v4
	v_cndmask_b32_e32 v4, v4, v2, vcc
	v_mov_b32_e32 v1, 1
; %bb.67:
	s_or_b64 exec, exec, s[2:3]
	v_mov_b32_e32 v6, v1
	v_pk_mov_b32 v[2:3], v[4:5], v[4:5] op_sel:[0,1]
.LBB30_68:
	s_or_b64 exec, exec, s[0:1]
	v_and_b32_e32 v1, 0xff, v6
	v_mov_b32_dpp v4, v2 row_bcast:15 row_mask:0xf bank_mask:0xf bound_ctrl:1
	v_mov_b32_dpp v5, v3 row_bcast:15 row_mask:0xf bank_mask:0xf bound_ctrl:1
	v_mov_b32_dpp v1, v1 row_bcast:15 row_mask:0xf bank_mask:0xf bound_ctrl:1
	v_and_b32_e32 v7, 1, v1
	v_cmp_eq_u32_e32 vcc, 1, v7
	s_and_saveexec_b64 s[0:1], vcc
	s_cbranch_execz .LBB30_72
; %bb.69:
	v_and_b32_e32 v6, 1, v6
	v_cmp_eq_u32_e32 vcc, 1, v6
	s_and_saveexec_b64 s[2:3], vcc
; %bb.70:
	v_cmp_lt_f32_e32 vcc, v5, v3
	v_cndmask_b32_e32 v5, v5, v3, vcc
	v_cmp_lt_f32_e32 vcc, v2, v4
	v_cndmask_b32_e32 v4, v4, v2, vcc
	v_mov_b32_e32 v1, 1
; %bb.71:
	s_or_b64 exec, exec, s[2:3]
	v_mov_b32_e32 v6, v1
	v_pk_mov_b32 v[2:3], v[4:5], v[4:5] op_sel:[0,1]
.LBB30_72:
	s_or_b64 exec, exec, s[0:1]
	v_and_b32_e32 v1, 0xff, v6
	v_mov_b32_dpp v4, v2 row_bcast:31 row_mask:0xf bank_mask:0xf bound_ctrl:1
	v_mov_b32_dpp v5, v3 row_bcast:31 row_mask:0xf bank_mask:0xf bound_ctrl:1
	;; [unrolled: 1-line block ×3, first 2 shown]
	v_and_b32_e32 v7, 1, v1
	v_cmp_eq_u32_e32 vcc, 1, v7
	s_and_saveexec_b64 s[0:1], vcc
	s_cbranch_execz .LBB30_76
; %bb.73:
	v_and_b32_e32 v6, 1, v6
	v_cmp_eq_u32_e32 vcc, 1, v6
	s_and_saveexec_b64 s[2:3], vcc
; %bb.74:
	v_cmp_lt_f32_e32 vcc, v5, v3
	v_cndmask_b32_e32 v5, v5, v3, vcc
	v_cmp_lt_f32_e32 vcc, v2, v4
	v_cndmask_b32_e32 v4, v4, v2, vcc
	v_mov_b32_e32 v1, 1
; %bb.75:
	s_or_b64 exec, exec, s[2:3]
	v_mov_b32_e32 v6, v1
	v_pk_mov_b32 v[2:3], v[4:5], v[4:5] op_sel:[0,1]
.LBB30_76:
	s_or_b64 exec, exec, s[0:1]
	v_mbcnt_lo_u32_b32 v1, -1, 0
	v_mbcnt_hi_u32_b32 v1, -1, v1
	v_bfrev_b32_e32 v5, 0.5
	v_and_b32_e32 v4, 0xff, v6
	v_lshl_or_b32 v5, v1, 2, v5
	ds_bpermute_b32 v9, v5, v4
	ds_bpermute_b32 v2, v5, v2
	;; [unrolled: 1-line block ×3, first 2 shown]
	v_cmp_eq_u32_e32 vcc, 0, v1
	s_and_saveexec_b64 s[0:1], vcc
	s_cbranch_execz .LBB30_78
; %bb.77:
	v_lshrrev_b32_e32 v4, 6, v0
	v_mul_u32_u24_e32 v4, 12, v4
	s_waitcnt lgkmcnt(2)
	ds_write_b8 v4, v9 offset:240
	s_waitcnt lgkmcnt(1)
	ds_write2_b32 v4, v2, v3 offset0:61 offset1:62
.LBB30_78:
	s_or_b64 exec, exec, s[0:1]
	v_cmp_gt_u32_e32 vcc, 64, v0
	s_waitcnt lgkmcnt(0)
	s_barrier
	s_and_saveexec_b64 s[0:1], vcc
	s_cbranch_execz .LBB30_88
; %bb.79:
	v_and_b32_e32 v7, 3, v1
	v_mul_u32_u24_e32 v2, 12, v7
	ds_read_u8 v8, v2 offset:240
	ds_read2_b32 v[2:3], v2 offset0:61 offset1:62
	v_cmp_ne_u32_e32 vcc, 3, v7
	v_addc_co_u32_e32 v4, vcc, 0, v1, vcc
	s_waitcnt lgkmcnt(1)
	v_and_b32_e32 v5, 0xff, v8
	v_lshlrev_b32_e32 v9, 2, v4
	ds_bpermute_b32 v6, v9, v5
	s_waitcnt lgkmcnt(1)
	ds_bpermute_b32 v4, v9, v2
	ds_bpermute_b32 v5, v9, v3
	v_and_b32_e32 v9, 1, v8
	v_cmp_eq_u32_e32 vcc, 1, v9
	s_and_saveexec_b64 s[2:3], vcc
	s_cbranch_execz .LBB30_83
; %bb.80:
	s_waitcnt lgkmcnt(2)
	v_and_b32_e32 v6, 1, v6
	v_cmp_eq_u32_e32 vcc, 1, v6
	s_and_saveexec_b64 s[4:5], vcc
	s_cbranch_execz .LBB30_82
; %bb.81:
	s_waitcnt lgkmcnt(0)
	v_cmp_gt_f32_e32 vcc, v5, v3
	v_cndmask_b32_e32 v3, v3, v5, vcc
	v_cmp_gt_f32_e32 vcc, v2, v4
	v_cndmask_b32_e32 v2, v2, v4, vcc
	v_mov_b32_e32 v8, 1
.LBB30_82:
	s_or_b64 exec, exec, s[4:5]
	v_mov_b32_e32 v6, v8
	s_waitcnt lgkmcnt(0)
	v_pk_mov_b32 v[4:5], v[2:3], v[2:3] op_sel:[0,1]
.LBB30_83:
	s_or_b64 exec, exec, s[2:3]
	v_cmp_gt_u32_e32 vcc, 2, v7
	v_cndmask_b32_e64 v3, 0, 1, vcc
	v_lshlrev_b32_e32 v3, 1, v3
	s_waitcnt lgkmcnt(2)
	v_and_b32_e32 v2, 0xff, v6
	v_add_lshl_u32 v3, v3, v1, 2
	ds_bpermute_b32 v1, v3, v2
	s_waitcnt lgkmcnt(2)
	ds_bpermute_b32 v2, v3, v4
	s_waitcnt lgkmcnt(2)
	ds_bpermute_b32 v3, v3, v5
	v_and_b32_e32 v7, 1, v6
	v_cmp_eq_u32_e32 vcc, 1, v7
	s_and_saveexec_b64 s[2:3], vcc
	s_cbranch_execz .LBB30_87
; %bb.84:
	s_waitcnt lgkmcnt(2)
	v_and_b32_e32 v1, 1, v1
	v_cmp_eq_u32_e32 vcc, 1, v1
	s_and_saveexec_b64 s[4:5], vcc
	s_cbranch_execz .LBB30_86
; %bb.85:
	s_waitcnt lgkmcnt(0)
	v_cmp_gt_f32_e32 vcc, v3, v5
	v_cndmask_b32_e32 v5, v5, v3, vcc
	v_cmp_gt_f32_e32 vcc, v4, v2
	v_cndmask_b32_e32 v4, v4, v2, vcc
	v_mov_b32_e32 v6, 1
.LBB30_86:
	s_or_b64 exec, exec, s[4:5]
	v_mov_b32_e32 v1, v6
	s_waitcnt lgkmcnt(0)
	v_pk_mov_b32 v[2:3], v[4:5], v[4:5] op_sel:[0,1]
.LBB30_87:
	s_or_b64 exec, exec, s[2:3]
	s_waitcnt lgkmcnt(2)
	v_and_b32_e32 v9, 0xff, v1
.LBB30_88:
	s_or_b64 exec, exec, s[0:1]
	s_mov_b64 s[0:1], 0
	s_branch .LBB30_139
.LBB30_89:
                                        ; implicit-def: $vgpr4_vgpr5
                                        ; implicit-def: $vgpr1
	s_branch .LBB30_437
.LBB30_90:
	s_mov_b64 s[0:1], -1
                                        ; implicit-def: $vgpr2_vgpr3
                                        ; implicit-def: $vgpr9
.LBB30_91:
	s_and_b64 vcc, exec, s[0:1]
	s_cbranch_vccz .LBB30_291
; %bb.92:
	s_sub_i32 s52, s40, s52
	v_cmp_gt_u32_e32 vcc, s52, v0
	s_waitcnt lgkmcnt(1)
	v_mov_b32_e32 v2, 0
	v_mov_b32_e32 v18, 0
	;; [unrolled: 1-line block ×3, first 2 shown]
	s_and_saveexec_b64 s[0:1], vcc
	s_cbranch_execz .LBB30_94
; %bb.93:
	v_lshlrev_b32_e32 v1, 2, v0
	global_load_dword v2, v1, s[50:51]
	s_abs_i32 s2, s39
	v_cvt_f32_u32_e32 v1, s2
	s_waitcnt lgkmcnt(0)
	v_add_u32_e32 v3, s54, v0
	v_sub_u32_e32 v5, 0, v3
	s_sub_i32 s3, 0, s2
	v_rcp_iflag_f32_e32 v1, v1
	v_ashrrev_i32_e32 v4, 31, v3
	v_max_i32_e32 v3, v3, v5
	v_mul_f32_e32 v1, 0x4f7ffffe, v1
	v_cvt_u32_f32_e32 v1, v1
	v_mul_lo_u32 v5, s3, v1
	v_mul_hi_u32 v5, v1, v5
	v_add_u32_e32 v1, v1, v5
	v_mul_hi_u32 v1, v3, v1
	v_mul_lo_u32 v1, v1, s2
	v_sub_u32_e32 v1, v3, v1
	v_subrev_u32_e32 v3, s2, v1
	v_cmp_le_u32_e32 vcc, s2, v1
	v_cndmask_b32_e32 v1, v1, v3, vcc
	v_subrev_u32_e32 v3, s2, v1
	v_cmp_le_u32_e32 vcc, s2, v1
	v_cndmask_b32_e32 v1, v1, v3, vcc
	v_xor_b32_e32 v1, v1, v4
	v_sub_u32_e32 v1, v1, v4
	v_cmp_gt_i32_e32 vcc, s38, v1
	v_cndmask_b32_e64 v1, 0, 1, vcc
.LBB30_94:
	s_or_b64 exec, exec, s[0:1]
	s_waitcnt lgkmcnt(0)
	v_or_b32_e32 v3, 0x100, v0
	v_cmp_gt_u32_e64 s[28:29], s52, v3
	v_mov_b32_e32 v33, 0
	s_and_saveexec_b64 s[0:1], s[28:29]
	s_cbranch_execz .LBB30_96
; %bb.95:
	v_lshlrev_b32_e32 v4, 2, v0
	global_load_dword v18, v4, s[50:51] offset:1024
	s_abs_i32 s2, s39
	v_cvt_f32_u32_e32 v4, s2
	v_add_u32_e32 v3, s54, v3
	v_sub_u32_e32 v6, 0, v3
	s_sub_i32 s3, 0, s2
	v_rcp_iflag_f32_e32 v4, v4
	v_ashrrev_i32_e32 v5, 31, v3
	v_max_i32_e32 v3, v3, v6
	v_mul_f32_e32 v4, 0x4f7ffffe, v4
	v_cvt_u32_f32_e32 v4, v4
	v_mul_lo_u32 v6, s3, v4
	v_mul_hi_u32 v6, v4, v6
	v_add_u32_e32 v4, v4, v6
	v_mul_hi_u32 v4, v3, v4
	v_mul_lo_u32 v4, v4, s2
	v_sub_u32_e32 v3, v3, v4
	v_subrev_u32_e32 v4, s2, v3
	v_cmp_le_u32_e32 vcc, s2, v3
	v_cndmask_b32_e32 v3, v3, v4, vcc
	v_subrev_u32_e32 v4, s2, v3
	v_cmp_le_u32_e32 vcc, s2, v3
	v_cndmask_b32_e32 v3, v3, v4, vcc
	v_xor_b32_e32 v3, v3, v5
	v_sub_u32_e32 v3, v3, v5
	v_cmp_gt_i32_e32 vcc, s38, v3
	v_cndmask_b32_e64 v33, 0, 1, vcc
.LBB30_96:
	s_or_b64 exec, exec, s[0:1]
	v_or_b32_e32 v3, 0x200, v0
	v_cmp_gt_u32_e64 s[26:27], s52, v3
	v_mov_b32_e32 v26, 0
	v_mov_b32_e32 v15, 0
	v_mov_b32_e32 v32, 0
	s_and_saveexec_b64 s[0:1], s[26:27]
	s_cbranch_execz .LBB30_98
; %bb.97:
	v_lshlrev_b32_e32 v4, 2, v0
	global_load_dword v26, v4, s[50:51] offset:2048
	s_abs_i32 s2, s39
	v_cvt_f32_u32_e32 v4, s2
	v_add_u32_e32 v3, s54, v3
	v_sub_u32_e32 v6, 0, v3
	s_sub_i32 s3, 0, s2
	v_rcp_iflag_f32_e32 v4, v4
	v_ashrrev_i32_e32 v5, 31, v3
	v_max_i32_e32 v3, v3, v6
	v_mul_f32_e32 v4, 0x4f7ffffe, v4
	v_cvt_u32_f32_e32 v4, v4
	v_mul_lo_u32 v6, s3, v4
	v_mul_hi_u32 v6, v4, v6
	v_add_u32_e32 v4, v4, v6
	v_mul_hi_u32 v4, v3, v4
	v_mul_lo_u32 v4, v4, s2
	v_sub_u32_e32 v3, v3, v4
	v_subrev_u32_e32 v4, s2, v3
	v_cmp_le_u32_e32 vcc, s2, v3
	v_cndmask_b32_e32 v3, v3, v4, vcc
	v_subrev_u32_e32 v4, s2, v3
	v_cmp_le_u32_e32 vcc, s2, v3
	v_cndmask_b32_e32 v3, v3, v4, vcc
	v_xor_b32_e32 v3, v3, v5
	v_sub_u32_e32 v3, v3, v5
	v_cmp_gt_i32_e32 vcc, s38, v3
	v_cndmask_b32_e64 v32, 0, 1, vcc
.LBB30_98:
	s_or_b64 exec, exec, s[0:1]
	v_or_b32_e32 v3, 0x300, v0
	v_cmp_gt_u32_e64 s[24:25], s52, v3
	v_mov_b32_e32 v31, 0
	s_and_saveexec_b64 s[0:1], s[24:25]
	s_cbranch_execz .LBB30_100
; %bb.99:
	v_lshlrev_b32_e32 v4, 2, v0
	global_load_dword v15, v4, s[50:51] offset:3072
	s_abs_i32 s2, s39
	v_cvt_f32_u32_e32 v4, s2
	v_add_u32_e32 v3, s54, v3
	v_sub_u32_e32 v6, 0, v3
	s_sub_i32 s3, 0, s2
	v_rcp_iflag_f32_e32 v4, v4
	v_ashrrev_i32_e32 v5, 31, v3
	v_max_i32_e32 v3, v3, v6
	v_mul_f32_e32 v4, 0x4f7ffffe, v4
	v_cvt_u32_f32_e32 v4, v4
	v_mul_lo_u32 v6, s3, v4
	v_mul_hi_u32 v6, v4, v6
	v_add_u32_e32 v4, v4, v6
	v_mul_hi_u32 v4, v3, v4
	v_mul_lo_u32 v4, v4, s2
	v_sub_u32_e32 v3, v3, v4
	v_subrev_u32_e32 v4, s2, v3
	v_cmp_le_u32_e32 vcc, s2, v3
	v_cndmask_b32_e32 v3, v3, v4, vcc
	v_subrev_u32_e32 v4, s2, v3
	v_cmp_le_u32_e32 vcc, s2, v3
	v_cndmask_b32_e32 v3, v3, v4, vcc
	v_xor_b32_e32 v3, v3, v5
	v_sub_u32_e32 v3, v3, v5
	v_cmp_gt_i32_e32 vcc, s38, v3
	v_cndmask_b32_e64 v31, 0, 1, vcc
.LBB30_100:
	s_or_b64 exec, exec, s[0:1]
	v_or_b32_e32 v3, 0x400, v0
	v_cmp_gt_u32_e64 s[22:23], s52, v3
	v_mov_b32_e32 v23, 0
	v_mov_b32_e32 v13, 0
	;; [unrolled: 1-line block ×3, first 2 shown]
	s_and_saveexec_b64 s[0:1], s[22:23]
	s_cbranch_execz .LBB30_102
; %bb.101:
	v_lshlrev_b32_e32 v4, 2, v3
	global_load_dword v23, v4, s[50:51]
	s_abs_i32 s2, s39
	v_cvt_f32_u32_e32 v4, s2
	v_add_u32_e32 v3, s54, v3
	v_sub_u32_e32 v6, 0, v3
	s_sub_i32 s3, 0, s2
	v_rcp_iflag_f32_e32 v4, v4
	v_ashrrev_i32_e32 v5, 31, v3
	v_max_i32_e32 v3, v3, v6
	v_mul_f32_e32 v4, 0x4f7ffffe, v4
	v_cvt_u32_f32_e32 v4, v4
	v_mul_lo_u32 v6, s3, v4
	v_mul_hi_u32 v6, v4, v6
	v_add_u32_e32 v4, v4, v6
	v_mul_hi_u32 v4, v3, v4
	v_mul_lo_u32 v4, v4, s2
	v_sub_u32_e32 v3, v3, v4
	v_subrev_u32_e32 v4, s2, v3
	v_cmp_le_u32_e32 vcc, s2, v3
	v_cndmask_b32_e32 v3, v3, v4, vcc
	v_subrev_u32_e32 v4, s2, v3
	v_cmp_le_u32_e32 vcc, s2, v3
	v_cndmask_b32_e32 v3, v3, v4, vcc
	v_xor_b32_e32 v3, v3, v5
	v_sub_u32_e32 v3, v3, v5
	v_cmp_gt_i32_e32 vcc, s38, v3
	v_cndmask_b32_e64 v30, 0, 1, vcc
.LBB30_102:
	s_or_b64 exec, exec, s[0:1]
	v_or_b32_e32 v3, 0x500, v0
	v_cmp_gt_u32_e64 s[20:21], s52, v3
	v_mov_b32_e32 v29, 0
	s_and_saveexec_b64 s[0:1], s[20:21]
	s_cbranch_execz .LBB30_104
; %bb.103:
	v_lshlrev_b32_e32 v4, 2, v3
	global_load_dword v13, v4, s[50:51]
	s_abs_i32 s2, s39
	v_cvt_f32_u32_e32 v4, s2
	v_add_u32_e32 v3, s54, v3
	v_sub_u32_e32 v6, 0, v3
	s_sub_i32 s3, 0, s2
	v_rcp_iflag_f32_e32 v4, v4
	v_ashrrev_i32_e32 v5, 31, v3
	v_max_i32_e32 v3, v3, v6
	v_mul_f32_e32 v4, 0x4f7ffffe, v4
	v_cvt_u32_f32_e32 v4, v4
	v_mul_lo_u32 v6, s3, v4
	v_mul_hi_u32 v6, v4, v6
	v_add_u32_e32 v4, v4, v6
	v_mul_hi_u32 v4, v3, v4
	v_mul_lo_u32 v4, v4, s2
	v_sub_u32_e32 v3, v3, v4
	v_subrev_u32_e32 v4, s2, v3
	v_cmp_le_u32_e32 vcc, s2, v3
	v_cndmask_b32_e32 v3, v3, v4, vcc
	v_subrev_u32_e32 v4, s2, v3
	v_cmp_le_u32_e32 vcc, s2, v3
	v_cndmask_b32_e32 v3, v3, v4, vcc
	v_xor_b32_e32 v3, v3, v5
	v_sub_u32_e32 v3, v3, v5
	v_cmp_gt_i32_e32 vcc, s38, v3
	v_cndmask_b32_e64 v29, 0, 1, vcc
.LBB30_104:
	s_or_b64 exec, exec, s[0:1]
	v_or_b32_e32 v3, 0x600, v0
	v_cmp_gt_u32_e64 s[18:19], s52, v3
	v_mov_b32_e32 v20, 0
	v_mov_b32_e32 v11, 0
	;; [unrolled: 1-line block ×3, first 2 shown]
	s_and_saveexec_b64 s[0:1], s[18:19]
	s_cbranch_execz .LBB30_106
; %bb.105:
	v_lshlrev_b32_e32 v4, 2, v3
	global_load_dword v20, v4, s[50:51]
	s_abs_i32 s2, s39
	v_cvt_f32_u32_e32 v4, s2
	v_add_u32_e32 v3, s54, v3
	v_sub_u32_e32 v6, 0, v3
	s_sub_i32 s3, 0, s2
	v_rcp_iflag_f32_e32 v4, v4
	v_ashrrev_i32_e32 v5, 31, v3
	v_max_i32_e32 v3, v3, v6
	v_mul_f32_e32 v4, 0x4f7ffffe, v4
	v_cvt_u32_f32_e32 v4, v4
	v_mul_lo_u32 v6, s3, v4
	v_mul_hi_u32 v6, v4, v6
	v_add_u32_e32 v4, v4, v6
	v_mul_hi_u32 v4, v3, v4
	v_mul_lo_u32 v4, v4, s2
	v_sub_u32_e32 v3, v3, v4
	v_subrev_u32_e32 v4, s2, v3
	v_cmp_le_u32_e32 vcc, s2, v3
	v_cndmask_b32_e32 v3, v3, v4, vcc
	v_subrev_u32_e32 v4, s2, v3
	v_cmp_le_u32_e32 vcc, s2, v3
	v_cndmask_b32_e32 v3, v3, v4, vcc
	v_xor_b32_e32 v3, v3, v5
	v_sub_u32_e32 v3, v3, v5
	v_cmp_gt_i32_e32 vcc, s38, v3
	v_cndmask_b32_e64 v28, 0, 1, vcc
.LBB30_106:
	s_or_b64 exec, exec, s[0:1]
	v_or_b32_e32 v3, 0x700, v0
	v_cmp_gt_u32_e64 s[16:17], s52, v3
	v_mov_b32_e32 v27, 0
	s_and_saveexec_b64 s[0:1], s[16:17]
	s_cbranch_execz .LBB30_108
; %bb.107:
	v_lshlrev_b32_e32 v4, 2, v3
	global_load_dword v11, v4, s[50:51]
	s_abs_i32 s2, s39
	v_cvt_f32_u32_e32 v4, s2
	v_add_u32_e32 v3, s54, v3
	v_sub_u32_e32 v6, 0, v3
	s_sub_i32 s3, 0, s2
	v_rcp_iflag_f32_e32 v4, v4
	v_ashrrev_i32_e32 v5, 31, v3
	v_max_i32_e32 v3, v3, v6
	v_mul_f32_e32 v4, 0x4f7ffffe, v4
	v_cvt_u32_f32_e32 v4, v4
	v_mul_lo_u32 v6, s3, v4
	v_mul_hi_u32 v6, v4, v6
	v_add_u32_e32 v4, v4, v6
	v_mul_hi_u32 v4, v3, v4
	v_mul_lo_u32 v4, v4, s2
	v_sub_u32_e32 v3, v3, v4
	v_subrev_u32_e32 v4, s2, v3
	v_cmp_le_u32_e32 vcc, s2, v3
	v_cndmask_b32_e32 v3, v3, v4, vcc
	v_subrev_u32_e32 v4, s2, v3
	v_cmp_le_u32_e32 vcc, s2, v3
	v_cndmask_b32_e32 v3, v3, v4, vcc
	v_xor_b32_e32 v3, v3, v5
	v_sub_u32_e32 v3, v3, v5
	v_cmp_gt_i32_e32 vcc, s38, v3
	v_cndmask_b32_e64 v27, 0, 1, vcc
.LBB30_108:
	s_or_b64 exec, exec, s[0:1]
	v_or_b32_e32 v3, 0x800, v0
	v_cmp_gt_u32_e64 s[14:15], s52, v3
	v_mov_b32_e32 v17, 0
	v_mov_b32_e32 v7, 0
	;; [unrolled: 1-line block ×3, first 2 shown]
	s_and_saveexec_b64 s[0:1], s[14:15]
	s_cbranch_execz .LBB30_110
; %bb.109:
	v_lshlrev_b32_e32 v4, 2, v3
	global_load_dword v17, v4, s[50:51]
	s_abs_i32 s2, s39
	v_cvt_f32_u32_e32 v4, s2
	v_add_u32_e32 v3, s54, v3
	v_sub_u32_e32 v6, 0, v3
	s_sub_i32 s3, 0, s2
	v_rcp_iflag_f32_e32 v4, v4
	v_ashrrev_i32_e32 v5, 31, v3
	v_max_i32_e32 v3, v3, v6
	v_mul_f32_e32 v4, 0x4f7ffffe, v4
	v_cvt_u32_f32_e32 v4, v4
	v_mul_lo_u32 v6, s3, v4
	v_mul_hi_u32 v6, v4, v6
	v_add_u32_e32 v4, v4, v6
	v_mul_hi_u32 v4, v3, v4
	v_mul_lo_u32 v4, v4, s2
	v_sub_u32_e32 v3, v3, v4
	v_subrev_u32_e32 v4, s2, v3
	v_cmp_le_u32_e32 vcc, s2, v3
	v_cndmask_b32_e32 v3, v3, v4, vcc
	v_subrev_u32_e32 v4, s2, v3
	v_cmp_le_u32_e32 vcc, s2, v3
	v_cndmask_b32_e32 v3, v3, v4, vcc
	v_xor_b32_e32 v3, v3, v5
	v_sub_u32_e32 v3, v3, v5
	v_cmp_gt_i32_e32 vcc, s38, v3
	v_cndmask_b32_e64 v25, 0, 1, vcc
.LBB30_110:
	s_or_b64 exec, exec, s[0:1]
	v_or_b32_e32 v3, 0x900, v0
	v_cmp_gt_u32_e64 s[12:13], s52, v3
	v_mov_b32_e32 v24, 0
	s_and_saveexec_b64 s[0:1], s[12:13]
	s_cbranch_execz .LBB30_112
; %bb.111:
	v_lshlrev_b32_e32 v4, 2, v3
	global_load_dword v7, v4, s[50:51]
	s_abs_i32 s2, s39
	v_cvt_f32_u32_e32 v4, s2
	v_add_u32_e32 v3, s54, v3
	v_sub_u32_e32 v6, 0, v3
	s_sub_i32 s3, 0, s2
	v_rcp_iflag_f32_e32 v4, v4
	v_ashrrev_i32_e32 v5, 31, v3
	v_max_i32_e32 v3, v3, v6
	v_mul_f32_e32 v4, 0x4f7ffffe, v4
	v_cvt_u32_f32_e32 v4, v4
	v_mul_lo_u32 v6, s3, v4
	v_mul_hi_u32 v6, v4, v6
	v_add_u32_e32 v4, v4, v6
	v_mul_hi_u32 v4, v3, v4
	v_mul_lo_u32 v4, v4, s2
	v_sub_u32_e32 v3, v3, v4
	v_subrev_u32_e32 v4, s2, v3
	v_cmp_le_u32_e32 vcc, s2, v3
	v_cndmask_b32_e32 v3, v3, v4, vcc
	v_subrev_u32_e32 v4, s2, v3
	v_cmp_le_u32_e32 vcc, s2, v3
	v_cndmask_b32_e32 v3, v3, v4, vcc
	v_xor_b32_e32 v3, v3, v5
	v_sub_u32_e32 v3, v3, v5
	v_cmp_gt_i32_e32 vcc, s38, v3
	v_cndmask_b32_e64 v24, 0, 1, vcc
.LBB30_112:
	s_or_b64 exec, exec, s[0:1]
	v_or_b32_e32 v3, 0xa00, v0
	v_cmp_gt_u32_e64 s[10:11], s52, v3
	v_mov_b32_e32 v14, 0
	v_mov_b32_e32 v5, 0
	;; [unrolled: 1-line block ×3, first 2 shown]
	s_and_saveexec_b64 s[0:1], s[10:11]
	s_cbranch_execz .LBB30_114
; %bb.113:
	v_lshlrev_b32_e32 v4, 2, v3
	global_load_dword v14, v4, s[50:51]
	s_abs_i32 s2, s39
	v_cvt_f32_u32_e32 v4, s2
	v_add_u32_e32 v3, s54, v3
	v_sub_u32_e32 v8, 0, v3
	s_sub_i32 s3, 0, s2
	v_rcp_iflag_f32_e32 v4, v4
	v_ashrrev_i32_e32 v6, 31, v3
	v_max_i32_e32 v3, v3, v8
	v_mul_f32_e32 v4, 0x4f7ffffe, v4
	v_cvt_u32_f32_e32 v4, v4
	v_mul_lo_u32 v8, s3, v4
	v_mul_hi_u32 v8, v4, v8
	v_add_u32_e32 v4, v4, v8
	v_mul_hi_u32 v4, v3, v4
	v_mul_lo_u32 v4, v4, s2
	v_sub_u32_e32 v3, v3, v4
	v_subrev_u32_e32 v4, s2, v3
	v_cmp_le_u32_e32 vcc, s2, v3
	v_cndmask_b32_e32 v3, v3, v4, vcc
	v_subrev_u32_e32 v4, s2, v3
	v_cmp_le_u32_e32 vcc, s2, v3
	v_cndmask_b32_e32 v3, v3, v4, vcc
	v_xor_b32_e32 v3, v3, v6
	v_sub_u32_e32 v3, v3, v6
	v_cmp_gt_i32_e32 vcc, s38, v3
	v_cndmask_b32_e64 v22, 0, 1, vcc
.LBB30_114:
	s_or_b64 exec, exec, s[0:1]
	v_or_b32_e32 v3, 0xb00, v0
	v_cmp_gt_u32_e64 s[8:9], s52, v3
	v_mov_b32_e32 v21, 0
	s_and_saveexec_b64 s[0:1], s[8:9]
	s_cbranch_execz .LBB30_116
; %bb.115:
	v_lshlrev_b32_e32 v4, 2, v3
	global_load_dword v5, v4, s[50:51]
	s_abs_i32 s2, s39
	v_cvt_f32_u32_e32 v4, s2
	v_add_u32_e32 v3, s54, v3
	v_sub_u32_e32 v8, 0, v3
	s_sub_i32 s3, 0, s2
	v_rcp_iflag_f32_e32 v4, v4
	v_ashrrev_i32_e32 v6, 31, v3
	v_max_i32_e32 v3, v3, v8
	v_mul_f32_e32 v4, 0x4f7ffffe, v4
	v_cvt_u32_f32_e32 v4, v4
	v_mul_lo_u32 v8, s3, v4
	v_mul_hi_u32 v8, v4, v8
	v_add_u32_e32 v4, v4, v8
	v_mul_hi_u32 v4, v3, v4
	v_mul_lo_u32 v4, v4, s2
	v_sub_u32_e32 v3, v3, v4
	v_subrev_u32_e32 v4, s2, v3
	v_cmp_le_u32_e32 vcc, s2, v3
	v_cndmask_b32_e32 v3, v3, v4, vcc
	v_subrev_u32_e32 v4, s2, v3
	v_cmp_le_u32_e32 vcc, s2, v3
	v_cndmask_b32_e32 v3, v3, v4, vcc
	v_xor_b32_e32 v3, v3, v6
	v_sub_u32_e32 v3, v3, v6
	v_cmp_gt_i32_e32 vcc, s38, v3
	v_cndmask_b32_e64 v21, 0, 1, vcc
.LBB30_116:
	s_or_b64 exec, exec, s[0:1]
	v_or_b32_e32 v3, 0xc00, v0
	v_cmp_gt_u32_e64 s[4:5], s52, v3
	v_mov_b32_e32 v19, 0
	v_mov_b32_e32 v9, 0
	;; [unrolled: 1-line block ×3, first 2 shown]
	s_and_saveexec_b64 s[0:1], s[4:5]
	s_cbranch_execz .LBB30_118
; %bb.117:
	v_lshlrev_b32_e32 v4, 2, v3
	global_load_dword v12, v4, s[50:51]
	s_abs_i32 s2, s39
	v_cvt_f32_u32_e32 v4, s2
	v_add_u32_e32 v3, s54, v3
	v_sub_u32_e32 v8, 0, v3
	s_sub_i32 s3, 0, s2
	v_rcp_iflag_f32_e32 v4, v4
	v_ashrrev_i32_e32 v6, 31, v3
	v_max_i32_e32 v3, v3, v8
	v_mul_f32_e32 v4, 0x4f7ffffe, v4
	v_cvt_u32_f32_e32 v4, v4
	v_mul_lo_u32 v8, s3, v4
	v_mul_hi_u32 v8, v4, v8
	v_add_u32_e32 v4, v4, v8
	v_mul_hi_u32 v4, v3, v4
	v_mul_lo_u32 v4, v4, s2
	v_sub_u32_e32 v3, v3, v4
	v_subrev_u32_e32 v4, s2, v3
	v_cmp_le_u32_e32 vcc, s2, v3
	v_cndmask_b32_e32 v3, v3, v4, vcc
	v_subrev_u32_e32 v4, s2, v3
	v_cmp_le_u32_e32 vcc, s2, v3
	v_cndmask_b32_e32 v3, v3, v4, vcc
	v_xor_b32_e32 v3, v3, v6
	v_sub_u32_e32 v3, v3, v6
	v_cmp_gt_i32_e32 vcc, s38, v3
	v_cndmask_b32_e64 v19, 0, 1, vcc
.LBB30_118:
	s_or_b64 exec, exec, s[0:1]
	v_or_b32_e32 v3, 0xd00, v0
	v_cmp_gt_u32_e64 s[2:3], s52, v3
	v_mov_b32_e32 v10, 0
	s_and_saveexec_b64 s[0:1], s[2:3]
	s_cbranch_execz .LBB30_120
; %bb.119:
	v_lshlrev_b32_e32 v4, 2, v3
	global_load_dword v10, v4, s[50:51]
	s_abs_i32 s30, s39
	v_cvt_f32_u32_e32 v4, s30
	v_add_u32_e32 v3, s54, v3
	v_sub_u32_e32 v8, 0, v3
	s_sub_i32 s31, 0, s30
	v_rcp_iflag_f32_e32 v4, v4
	v_ashrrev_i32_e32 v6, 31, v3
	v_max_i32_e32 v3, v3, v8
	v_mul_f32_e32 v4, 0x4f7ffffe, v4
	v_cvt_u32_f32_e32 v4, v4
	v_mul_lo_u32 v8, s31, v4
	v_mul_hi_u32 v8, v4, v8
	v_add_u32_e32 v4, v4, v8
	v_mul_hi_u32 v4, v3, v4
	v_mul_lo_u32 v4, v4, s30
	v_sub_u32_e32 v3, v3, v4
	v_subrev_u32_e32 v4, s30, v3
	v_cmp_le_u32_e32 vcc, s30, v3
	v_cndmask_b32_e32 v3, v3, v4, vcc
	v_subrev_u32_e32 v4, s30, v3
	v_cmp_le_u32_e32 vcc, s30, v3
	v_cndmask_b32_e32 v3, v3, v4, vcc
	v_xor_b32_e32 v3, v3, v6
	v_sub_u32_e32 v3, v3, v6
	v_cmp_gt_i32_e32 vcc, s38, v3
	v_cndmask_b32_e64 v9, 0, 1, vcc
.LBB30_120:
	s_or_b64 exec, exec, s[0:1]
	v_or_b32_e32 v3, 0xe00, v0
	v_cmp_gt_u32_e64 s[0:1], s52, v3
	v_mov_b32_e32 v16, 0
	v_mov_b32_e32 v6, 0
	;; [unrolled: 1-line block ×3, first 2 shown]
	s_and_saveexec_b64 s[30:31], s[0:1]
	s_cbranch_execz .LBB30_122
; %bb.121:
	v_lshlrev_b32_e32 v4, 2, v3
	global_load_dword v8, v4, s[50:51]
	s_abs_i32 s34, s39
	v_cvt_f32_u32_e32 v4, s34
	v_add_u32_e32 v3, s54, v3
	v_sub_u32_e32 v34, 0, v3
	s_sub_i32 s35, 0, s34
	v_rcp_iflag_f32_e32 v4, v4
	v_ashrrev_i32_e32 v16, 31, v3
	v_max_i32_e32 v3, v3, v34
	v_mul_f32_e32 v4, 0x4f7ffffe, v4
	v_cvt_u32_f32_e32 v4, v4
	v_mul_lo_u32 v34, s35, v4
	v_mul_hi_u32 v34, v4, v34
	v_add_u32_e32 v4, v4, v34
	v_mul_hi_u32 v4, v3, v4
	v_mul_lo_u32 v4, v4, s34
	v_sub_u32_e32 v3, v3, v4
	v_subrev_u32_e32 v4, s34, v3
	v_cmp_le_u32_e32 vcc, s34, v3
	v_cndmask_b32_e32 v3, v3, v4, vcc
	v_subrev_u32_e32 v4, s34, v3
	v_cmp_le_u32_e32 vcc, s34, v3
	v_cndmask_b32_e32 v3, v3, v4, vcc
	v_xor_b32_e32 v3, v3, v16
	v_sub_u32_e32 v3, v3, v16
	v_cmp_gt_i32_e32 vcc, s38, v3
	v_cndmask_b32_e64 v16, 0, 1, vcc
.LBB30_122:
	s_or_b64 exec, exec, s[30:31]
	v_or_b32_e32 v3, 0xf00, v0
	v_cmp_gt_u32_e32 vcc, s52, v3
	v_mov_b32_e32 v4, 0
	s_and_saveexec_b64 s[34:35], vcc
	s_cbranch_execnz .LBB30_162
; %bb.123:
	s_or_b64 exec, exec, s[34:35]
	s_waitcnt vmcnt(0)
	v_mov_b32_e32 v3, v2
	s_and_saveexec_b64 s[30:31], s[28:29]
	s_cbranch_execnz .LBB30_163
.LBB30_124:
	s_or_b64 exec, exec, s[30:31]
	s_and_saveexec_b64 s[28:29], s[26:27]
	s_cbranch_execnz .LBB30_168
.LBB30_125:
	s_or_b64 exec, exec, s[28:29]
	s_and_saveexec_b64 s[26:27], s[24:25]
	s_cbranch_execnz .LBB30_173
.LBB30_126:
	s_or_b64 exec, exec, s[26:27]
	s_and_saveexec_b64 s[24:25], s[22:23]
	s_cbranch_execnz .LBB30_178
.LBB30_127:
	s_or_b64 exec, exec, s[24:25]
	s_and_saveexec_b64 s[22:23], s[20:21]
	s_cbranch_execnz .LBB30_183
.LBB30_128:
	s_or_b64 exec, exec, s[22:23]
	s_and_saveexec_b64 s[20:21], s[18:19]
	s_cbranch_execnz .LBB30_188
.LBB30_129:
	s_or_b64 exec, exec, s[20:21]
	s_and_saveexec_b64 s[18:19], s[16:17]
	s_cbranch_execnz .LBB30_193
.LBB30_130:
	s_or_b64 exec, exec, s[18:19]
	s_and_saveexec_b64 s[16:17], s[14:15]
	s_cbranch_execnz .LBB30_198
.LBB30_131:
	s_or_b64 exec, exec, s[16:17]
	s_and_saveexec_b64 s[14:15], s[12:13]
	s_cbranch_execnz .LBB30_203
.LBB30_132:
	s_or_b64 exec, exec, s[14:15]
	s_and_saveexec_b64 s[12:13], s[10:11]
	s_cbranch_execnz .LBB30_208
.LBB30_133:
	s_or_b64 exec, exec, s[12:13]
	s_and_saveexec_b64 s[10:11], s[8:9]
	s_cbranch_execnz .LBB30_213
.LBB30_134:
	s_or_b64 exec, exec, s[10:11]
	s_and_saveexec_b64 s[8:9], s[4:5]
	s_cbranch_execnz .LBB30_218
.LBB30_135:
	s_or_b64 exec, exec, s[8:9]
	s_and_saveexec_b64 s[4:5], s[2:3]
	s_cbranch_execnz .LBB30_223
.LBB30_136:
	s_or_b64 exec, exec, s[4:5]
	s_and_saveexec_b64 s[2:3], s[0:1]
	s_cbranch_execnz .LBB30_228
.LBB30_137:
	s_or_b64 exec, exec, s[2:3]
	s_and_saveexec_b64 s[0:1], vcc
	s_cbranch_execnz .LBB30_233
	s_branch .LBB30_238
.LBB30_138:
	s_mov_b64 s[0:1], -1
                                        ; implicit-def: $vgpr2_vgpr3
                                        ; implicit-def: $vgpr9
.LBB30_139:
	s_and_b64 vcc, exec, s[0:1]
	s_cbranch_vccz .LBB30_388
; %bb.140:
	s_sub_i32 s22, s40, s22
	v_cmp_gt_u32_e32 vcc, s22, v0
	s_waitcnt lgkmcnt(1)
	v_mov_b32_e32 v2, 0
	v_mov_b32_e32 v8, 0
	;; [unrolled: 1-line block ×3, first 2 shown]
	s_and_saveexec_b64 s[0:1], vcc
	s_cbranch_execz .LBB30_142
; %bb.141:
	v_lshlrev_b32_e32 v1, 2, v0
	global_load_dword v2, v1, s[20:21]
	s_abs_i32 s2, s39
	v_cvt_f32_u32_e32 v1, s2
	s_waitcnt lgkmcnt(0)
	v_add_u32_e32 v3, s24, v0
	v_sub_u32_e32 v5, 0, v3
	s_sub_i32 s3, 0, s2
	v_rcp_iflag_f32_e32 v1, v1
	v_ashrrev_i32_e32 v4, 31, v3
	v_max_i32_e32 v3, v3, v5
	v_mul_f32_e32 v1, 0x4f7ffffe, v1
	v_cvt_u32_f32_e32 v1, v1
	v_mul_lo_u32 v5, s3, v1
	v_mul_hi_u32 v5, v1, v5
	v_add_u32_e32 v1, v1, v5
	v_mul_hi_u32 v1, v3, v1
	v_mul_lo_u32 v1, v1, s2
	v_sub_u32_e32 v1, v3, v1
	v_subrev_u32_e32 v3, s2, v1
	v_cmp_le_u32_e32 vcc, s2, v1
	v_cndmask_b32_e32 v1, v1, v3, vcc
	v_subrev_u32_e32 v3, s2, v1
	v_cmp_le_u32_e32 vcc, s2, v1
	v_cndmask_b32_e32 v1, v1, v3, vcc
	v_xor_b32_e32 v1, v1, v4
	v_sub_u32_e32 v1, v1, v4
	v_cmp_gt_i32_e32 vcc, s38, v1
	v_cndmask_b32_e64 v1, 0, 1, vcc
.LBB30_142:
	s_or_b64 exec, exec, s[0:1]
	s_waitcnt lgkmcnt(0)
	v_or_b32_e32 v3, 0x100, v0
	v_cmp_gt_u32_e64 s[12:13], s22, v3
	v_mov_b32_e32 v17, 0
	s_and_saveexec_b64 s[0:1], s[12:13]
	s_cbranch_execz .LBB30_144
; %bb.143:
	v_lshlrev_b32_e32 v4, 2, v0
	global_load_dword v8, v4, s[20:21] offset:1024
	s_abs_i32 s2, s39
	v_cvt_f32_u32_e32 v4, s2
	v_add_u32_e32 v3, s24, v3
	v_sub_u32_e32 v6, 0, v3
	s_sub_i32 s3, 0, s2
	v_rcp_iflag_f32_e32 v4, v4
	v_ashrrev_i32_e32 v5, 31, v3
	v_max_i32_e32 v3, v3, v6
	v_mul_f32_e32 v4, 0x4f7ffffe, v4
	v_cvt_u32_f32_e32 v4, v4
	v_mul_lo_u32 v6, s3, v4
	v_mul_hi_u32 v6, v4, v6
	v_add_u32_e32 v4, v4, v6
	v_mul_hi_u32 v4, v3, v4
	v_mul_lo_u32 v4, v4, s2
	v_sub_u32_e32 v3, v3, v4
	v_subrev_u32_e32 v4, s2, v3
	v_cmp_le_u32_e32 vcc, s2, v3
	v_cndmask_b32_e32 v3, v3, v4, vcc
	v_subrev_u32_e32 v4, s2, v3
	v_cmp_le_u32_e32 vcc, s2, v3
	v_cndmask_b32_e32 v3, v3, v4, vcc
	v_xor_b32_e32 v3, v3, v5
	v_sub_u32_e32 v3, v3, v5
	v_cmp_gt_i32_e32 vcc, s38, v3
	v_cndmask_b32_e64 v17, 0, 1, vcc
.LBB30_144:
	s_or_b64 exec, exec, s[0:1]
	v_or_b32_e32 v3, 0x200, v0
	v_cmp_gt_u32_e64 s[10:11], s22, v3
	v_mov_b32_e32 v11, 0
	v_mov_b32_e32 v6, 0
	;; [unrolled: 1-line block ×3, first 2 shown]
	s_and_saveexec_b64 s[0:1], s[10:11]
	s_cbranch_execz .LBB30_146
; %bb.145:
	v_lshlrev_b32_e32 v4, 2, v0
	global_load_dword v11, v4, s[20:21] offset:2048
	s_abs_i32 s2, s39
	v_cvt_f32_u32_e32 v4, s2
	v_add_u32_e32 v3, s24, v3
	v_sub_u32_e32 v7, 0, v3
	s_sub_i32 s3, 0, s2
	v_rcp_iflag_f32_e32 v4, v4
	v_ashrrev_i32_e32 v5, 31, v3
	v_max_i32_e32 v3, v3, v7
	v_mul_f32_e32 v4, 0x4f7ffffe, v4
	v_cvt_u32_f32_e32 v4, v4
	v_mul_lo_u32 v7, s3, v4
	v_mul_hi_u32 v7, v4, v7
	v_add_u32_e32 v4, v4, v7
	v_mul_hi_u32 v4, v3, v4
	v_mul_lo_u32 v4, v4, s2
	v_sub_u32_e32 v3, v3, v4
	v_subrev_u32_e32 v4, s2, v3
	v_cmp_le_u32_e32 vcc, s2, v3
	v_cndmask_b32_e32 v3, v3, v4, vcc
	v_subrev_u32_e32 v4, s2, v3
	v_cmp_le_u32_e32 vcc, s2, v3
	v_cndmask_b32_e32 v3, v3, v4, vcc
	v_xor_b32_e32 v3, v3, v5
	v_sub_u32_e32 v3, v3, v5
	v_cmp_gt_i32_e32 vcc, s38, v3
	v_cndmask_b32_e64 v16, 0, 1, vcc
.LBB30_146:
	s_or_b64 exec, exec, s[0:1]
	v_or_b32_e32 v3, 0x300, v0
	v_cmp_gt_u32_e64 s[8:9], s22, v3
	v_mov_b32_e32 v15, 0
	s_and_saveexec_b64 s[0:1], s[8:9]
	s_cbranch_execz .LBB30_148
; %bb.147:
	v_lshlrev_b32_e32 v4, 2, v0
	global_load_dword v6, v4, s[20:21] offset:3072
	s_abs_i32 s2, s39
	v_cvt_f32_u32_e32 v4, s2
	v_add_u32_e32 v3, s24, v3
	v_sub_u32_e32 v7, 0, v3
	s_sub_i32 s3, 0, s2
	v_rcp_iflag_f32_e32 v4, v4
	v_ashrrev_i32_e32 v5, 31, v3
	v_max_i32_e32 v3, v3, v7
	v_mul_f32_e32 v4, 0x4f7ffffe, v4
	v_cvt_u32_f32_e32 v4, v4
	v_mul_lo_u32 v7, s3, v4
	v_mul_hi_u32 v7, v4, v7
	v_add_u32_e32 v4, v4, v7
	v_mul_hi_u32 v4, v3, v4
	v_mul_lo_u32 v4, v4, s2
	v_sub_u32_e32 v3, v3, v4
	v_subrev_u32_e32 v4, s2, v3
	v_cmp_le_u32_e32 vcc, s2, v3
	v_cndmask_b32_e32 v3, v3, v4, vcc
	v_subrev_u32_e32 v4, s2, v3
	v_cmp_le_u32_e32 vcc, s2, v3
	v_cndmask_b32_e32 v3, v3, v4, vcc
	v_xor_b32_e32 v3, v3, v5
	v_sub_u32_e32 v3, v3, v5
	v_cmp_gt_i32_e32 vcc, s38, v3
	v_cndmask_b32_e64 v15, 0, 1, vcc
.LBB30_148:
	s_or_b64 exec, exec, s[0:1]
	v_or_b32_e32 v3, 0x400, v0
	v_cmp_gt_u32_e64 s[4:5], s22, v3
	v_mov_b32_e32 v10, 0
	v_mov_b32_e32 v5, 0
	;; [unrolled: 1-line block ×3, first 2 shown]
	s_and_saveexec_b64 s[0:1], s[4:5]
	s_cbranch_execz .LBB30_150
; %bb.149:
	v_lshlrev_b32_e32 v4, 2, v3
	global_load_dword v10, v4, s[20:21]
	s_abs_i32 s2, s39
	v_cvt_f32_u32_e32 v4, s2
	v_add_u32_e32 v3, s24, v3
	v_sub_u32_e32 v9, 0, v3
	s_sub_i32 s3, 0, s2
	v_rcp_iflag_f32_e32 v4, v4
	v_ashrrev_i32_e32 v7, 31, v3
	v_max_i32_e32 v3, v3, v9
	v_mul_f32_e32 v4, 0x4f7ffffe, v4
	v_cvt_u32_f32_e32 v4, v4
	v_mul_lo_u32 v9, s3, v4
	v_mul_hi_u32 v9, v4, v9
	v_add_u32_e32 v4, v4, v9
	v_mul_hi_u32 v4, v3, v4
	v_mul_lo_u32 v4, v4, s2
	v_sub_u32_e32 v3, v3, v4
	v_subrev_u32_e32 v4, s2, v3
	v_cmp_le_u32_e32 vcc, s2, v3
	v_cndmask_b32_e32 v3, v3, v4, vcc
	v_subrev_u32_e32 v4, s2, v3
	v_cmp_le_u32_e32 vcc, s2, v3
	v_cndmask_b32_e32 v3, v3, v4, vcc
	v_xor_b32_e32 v3, v3, v7
	v_sub_u32_e32 v3, v3, v7
	v_cmp_gt_i32_e32 vcc, s38, v3
	v_cndmask_b32_e64 v14, 0, 1, vcc
.LBB30_150:
	s_or_b64 exec, exec, s[0:1]
	v_or_b32_e32 v3, 0x500, v0
	v_cmp_gt_u32_e64 s[2:3], s22, v3
	v_mov_b32_e32 v13, 0
	s_and_saveexec_b64 s[0:1], s[2:3]
	s_cbranch_execz .LBB30_152
; %bb.151:
	v_lshlrev_b32_e32 v4, 2, v3
	global_load_dword v5, v4, s[20:21]
	s_abs_i32 s14, s39
	v_cvt_f32_u32_e32 v4, s14
	v_add_u32_e32 v3, s24, v3
	v_sub_u32_e32 v9, 0, v3
	s_sub_i32 s15, 0, s14
	v_rcp_iflag_f32_e32 v4, v4
	v_ashrrev_i32_e32 v7, 31, v3
	v_max_i32_e32 v3, v3, v9
	v_mul_f32_e32 v4, 0x4f7ffffe, v4
	v_cvt_u32_f32_e32 v4, v4
	v_mul_lo_u32 v9, s15, v4
	v_mul_hi_u32 v9, v4, v9
	v_add_u32_e32 v4, v4, v9
	v_mul_hi_u32 v4, v3, v4
	v_mul_lo_u32 v4, v4, s14
	v_sub_u32_e32 v3, v3, v4
	v_subrev_u32_e32 v4, s14, v3
	v_cmp_le_u32_e32 vcc, s14, v3
	v_cndmask_b32_e32 v3, v3, v4, vcc
	v_subrev_u32_e32 v4, s14, v3
	v_cmp_le_u32_e32 vcc, s14, v3
	v_cndmask_b32_e32 v3, v3, v4, vcc
	v_xor_b32_e32 v3, v3, v7
	v_sub_u32_e32 v3, v3, v7
	v_cmp_gt_i32_e32 vcc, s38, v3
	v_cndmask_b32_e64 v13, 0, 1, vcc
.LBB30_152:
	s_or_b64 exec, exec, s[0:1]
	v_or_b32_e32 v3, 0x600, v0
	v_cmp_gt_u32_e64 s[0:1], s22, v3
	v_mov_b32_e32 v12, 0
	v_mov_b32_e32 v7, 0
	;; [unrolled: 1-line block ×3, first 2 shown]
	s_and_saveexec_b64 s[14:15], s[0:1]
	s_cbranch_execz .LBB30_154
; %bb.153:
	v_lshlrev_b32_e32 v4, 2, v3
	global_load_dword v9, v4, s[20:21]
	s_abs_i32 s16, s39
	v_cvt_f32_u32_e32 v4, s16
	v_add_u32_e32 v3, s24, v3
	v_sub_u32_e32 v18, 0, v3
	s_sub_i32 s17, 0, s16
	v_rcp_iflag_f32_e32 v4, v4
	v_ashrrev_i32_e32 v12, 31, v3
	v_max_i32_e32 v3, v3, v18
	v_mul_f32_e32 v4, 0x4f7ffffe, v4
	v_cvt_u32_f32_e32 v4, v4
	v_mul_lo_u32 v18, s17, v4
	v_mul_hi_u32 v18, v4, v18
	v_add_u32_e32 v4, v4, v18
	v_mul_hi_u32 v4, v3, v4
	v_mul_lo_u32 v4, v4, s16
	v_sub_u32_e32 v3, v3, v4
	v_subrev_u32_e32 v4, s16, v3
	v_cmp_le_u32_e32 vcc, s16, v3
	v_cndmask_b32_e32 v3, v3, v4, vcc
	v_subrev_u32_e32 v4, s16, v3
	v_cmp_le_u32_e32 vcc, s16, v3
	v_cndmask_b32_e32 v3, v3, v4, vcc
	v_xor_b32_e32 v3, v3, v12
	v_sub_u32_e32 v3, v3, v12
	v_cmp_gt_i32_e32 vcc, s38, v3
	v_cndmask_b32_e64 v12, 0, 1, vcc
.LBB30_154:
	s_or_b64 exec, exec, s[14:15]
	v_or_b32_e32 v3, 0x700, v0
	v_cmp_gt_u32_e32 vcc, s22, v3
	v_mov_b32_e32 v4, 0
	s_and_saveexec_b64 s[16:17], vcc
	s_cbranch_execnz .LBB30_299
; %bb.155:
	s_or_b64 exec, exec, s[16:17]
	s_waitcnt vmcnt(0)
	v_mov_b32_e32 v3, v2
	s_and_saveexec_b64 s[14:15], s[12:13]
	s_cbranch_execnz .LBB30_300
.LBB30_156:
	s_or_b64 exec, exec, s[14:15]
	s_and_saveexec_b64 s[12:13], s[10:11]
	s_cbranch_execnz .LBB30_305
.LBB30_157:
	s_or_b64 exec, exec, s[12:13]
	s_and_saveexec_b64 s[10:11], s[8:9]
	s_cbranch_execnz .LBB30_310
.LBB30_158:
	s_or_b64 exec, exec, s[10:11]
	s_and_saveexec_b64 s[8:9], s[4:5]
	s_cbranch_execnz .LBB30_315
.LBB30_159:
	s_or_b64 exec, exec, s[8:9]
	s_and_saveexec_b64 s[4:5], s[2:3]
	s_cbranch_execnz .LBB30_320
.LBB30_160:
	s_or_b64 exec, exec, s[4:5]
	s_and_saveexec_b64 s[2:3], s[0:1]
	s_cbranch_execnz .LBB30_325
.LBB30_161:
	s_or_b64 exec, exec, s[2:3]
	s_and_saveexec_b64 s[0:1], vcc
	s_cbranch_execnz .LBB30_330
	s_branch .LBB30_335
.LBB30_162:
	v_lshlrev_b32_e32 v4, 2, v3
	global_load_dword v4, v4, s[50:51]
	s_abs_i32 s50, s39
	v_cvt_f32_u32_e32 v6, s50
	v_add_u32_e32 v3, s54, v3
	v_sub_u32_e32 v35, 0, v3
	s_sub_i32 s30, 0, s50
	v_rcp_iflag_f32_e32 v6, v6
	v_ashrrev_i32_e32 v34, 31, v3
	v_max_i32_e32 v3, v3, v35
	v_mul_f32_e32 v6, 0x4f7ffffe, v6
	v_cvt_u32_f32_e32 v6, v6
	v_mul_lo_u32 v35, s30, v6
	v_mul_hi_u32 v35, v6, v35
	v_add_u32_e32 v6, v6, v35
	v_mul_hi_u32 v6, v3, v6
	v_mul_lo_u32 v6, v6, s50
	v_sub_u32_e32 v3, v3, v6
	v_subrev_u32_e32 v6, s50, v3
	v_cmp_le_u32_e64 s[30:31], s50, v3
	v_cndmask_b32_e64 v3, v3, v6, s[30:31]
	v_subrev_u32_e32 v6, s50, v3
	v_cmp_le_u32_e64 s[30:31], s50, v3
	v_cndmask_b32_e64 v3, v3, v6, s[30:31]
	v_xor_b32_e32 v3, v3, v34
	v_sub_u32_e32 v3, v3, v34
	v_cmp_gt_i32_e64 s[30:31], s38, v3
	v_cndmask_b32_e64 v6, 0, 1, s[30:31]
	s_or_b64 exec, exec, s[34:35]
	s_waitcnt vmcnt(1)
	v_mov_b32_e32 v3, v2
	s_and_saveexec_b64 s[30:31], s[28:29]
	s_cbranch_execz .LBB30_124
.LBB30_163:
	v_and_b32_e32 v3, 1, v1
	v_cmp_eq_u32_e64 s[28:29], 1, v3
	v_mov_b32_e32 v3, v18
	s_and_saveexec_b64 s[34:35], s[28:29]
	s_cbranch_execz .LBB30_167
; %bb.164:
	v_and_b32_e32 v3, 1, v33
	v_cmp_eq_u32_e64 s[28:29], 1, v3
	v_mov_b32_e32 v3, v2
	s_and_saveexec_b64 s[50:51], s[28:29]
; %bb.165:
	v_cmp_lt_f32_e64 s[28:29], v2, v18
	v_cndmask_b32_e64 v33, v2, v18, s[28:29]
	v_cmp_lt_f32_e64 s[28:29], v18, v2
	v_cndmask_b32_e64 v3, v2, v18, s[28:29]
	v_mov_b32_e32 v1, 1
	v_mov_b32_e32 v2, v33
; %bb.166:
	s_or_b64 exec, exec, s[50:51]
	v_mov_b32_e32 v18, v2
	v_mov_b32_e32 v33, v1
.LBB30_167:
	s_or_b64 exec, exec, s[34:35]
	v_mov_b32_e32 v1, v33
	v_mov_b32_e32 v2, v3
	;; [unrolled: 1-line block ×3, first 2 shown]
	s_or_b64 exec, exec, s[30:31]
	s_and_saveexec_b64 s[28:29], s[26:27]
	s_cbranch_execz .LBB30_125
.LBB30_168:
	v_and_b32_e32 v18, 1, v1
	v_cmp_eq_u32_e64 s[26:27], 1, v18
	v_mov_b32_e32 v18, v26
	s_and_saveexec_b64 s[30:31], s[26:27]
	s_cbranch_execz .LBB30_172
; %bb.169:
	v_and_b32_e32 v18, 1, v32
	v_cmp_eq_u32_e64 s[26:27], 1, v18
	s_and_saveexec_b64 s[34:35], s[26:27]
; %bb.170:
	v_cmp_lt_f32_e64 s[26:27], v3, v26
	v_cndmask_b32_e64 v3, v3, v26, s[26:27]
	v_cmp_lt_f32_e64 s[26:27], v26, v2
	v_cndmask_b32_e64 v2, v2, v26, s[26:27]
	v_mov_b32_e32 v1, 1
; %bb.171:
	s_or_b64 exec, exec, s[34:35]
	v_mov_b32_e32 v26, v3
	v_mov_b32_e32 v18, v2
	;; [unrolled: 1-line block ×3, first 2 shown]
.LBB30_172:
	s_or_b64 exec, exec, s[30:31]
	v_mov_b32_e32 v1, v32
	v_mov_b32_e32 v2, v18
	;; [unrolled: 1-line block ×3, first 2 shown]
	s_or_b64 exec, exec, s[28:29]
	s_and_saveexec_b64 s[26:27], s[24:25]
	s_cbranch_execz .LBB30_126
.LBB30_173:
	v_and_b32_e32 v18, 1, v1
	v_cmp_eq_u32_e64 s[24:25], 1, v18
	v_mov_b32_e32 v18, v15
	s_and_saveexec_b64 s[28:29], s[24:25]
	s_cbranch_execz .LBB30_177
; %bb.174:
	v_and_b32_e32 v18, 1, v31
	v_cmp_eq_u32_e64 s[24:25], 1, v18
	s_and_saveexec_b64 s[30:31], s[24:25]
; %bb.175:
	v_cmp_lt_f32_e64 s[24:25], v3, v15
	v_cndmask_b32_e64 v3, v3, v15, s[24:25]
	v_cmp_lt_f32_e64 s[24:25], v15, v2
	v_cndmask_b32_e64 v2, v2, v15, s[24:25]
	v_mov_b32_e32 v1, 1
; %bb.176:
	s_or_b64 exec, exec, s[30:31]
	v_mov_b32_e32 v15, v3
	v_mov_b32_e32 v18, v2
	;; [unrolled: 1-line block ×3, first 2 shown]
.LBB30_177:
	s_or_b64 exec, exec, s[28:29]
	v_mov_b32_e32 v1, v31
	v_mov_b32_e32 v2, v18
	;; [unrolled: 1-line block ×3, first 2 shown]
	s_or_b64 exec, exec, s[26:27]
	s_and_saveexec_b64 s[24:25], s[22:23]
	s_cbranch_execz .LBB30_127
.LBB30_178:
	v_and_b32_e32 v15, 1, v1
	v_cmp_eq_u32_e64 s[22:23], 1, v15
	v_mov_b32_e32 v15, v23
	s_and_saveexec_b64 s[26:27], s[22:23]
	s_cbranch_execz .LBB30_182
; %bb.179:
	v_and_b32_e32 v15, 1, v30
	v_cmp_eq_u32_e64 s[22:23], 1, v15
	s_and_saveexec_b64 s[28:29], s[22:23]
; %bb.180:
	v_cmp_lt_f32_e64 s[22:23], v3, v23
	v_cndmask_b32_e64 v3, v3, v23, s[22:23]
	v_cmp_lt_f32_e64 s[22:23], v23, v2
	v_cndmask_b32_e64 v2, v2, v23, s[22:23]
	v_mov_b32_e32 v1, 1
; %bb.181:
	s_or_b64 exec, exec, s[28:29]
	v_mov_b32_e32 v23, v3
	v_mov_b32_e32 v15, v2
	;; [unrolled: 1-line block ×3, first 2 shown]
.LBB30_182:
	s_or_b64 exec, exec, s[26:27]
	v_mov_b32_e32 v1, v30
	v_mov_b32_e32 v2, v15
	;; [unrolled: 1-line block ×3, first 2 shown]
	s_or_b64 exec, exec, s[24:25]
	s_and_saveexec_b64 s[22:23], s[20:21]
	s_cbranch_execz .LBB30_128
.LBB30_183:
	v_and_b32_e32 v15, 1, v1
	v_cmp_eq_u32_e64 s[20:21], 1, v15
	v_mov_b32_e32 v15, v13
	s_and_saveexec_b64 s[24:25], s[20:21]
	s_cbranch_execz .LBB30_187
; %bb.184:
	v_and_b32_e32 v15, 1, v29
	v_cmp_eq_u32_e64 s[20:21], 1, v15
	s_and_saveexec_b64 s[26:27], s[20:21]
; %bb.185:
	v_cmp_lt_f32_e64 s[20:21], v3, v13
	v_cndmask_b32_e64 v3, v3, v13, s[20:21]
	v_cmp_lt_f32_e64 s[20:21], v13, v2
	v_cndmask_b32_e64 v2, v2, v13, s[20:21]
	v_mov_b32_e32 v1, 1
; %bb.186:
	s_or_b64 exec, exec, s[26:27]
	v_mov_b32_e32 v13, v3
	v_mov_b32_e32 v15, v2
	;; [unrolled: 1-line block ×3, first 2 shown]
.LBB30_187:
	s_or_b64 exec, exec, s[24:25]
	v_mov_b32_e32 v1, v29
	v_mov_b32_e32 v2, v15
	;; [unrolled: 1-line block ×3, first 2 shown]
	s_or_b64 exec, exec, s[22:23]
	s_and_saveexec_b64 s[20:21], s[18:19]
	s_cbranch_execz .LBB30_129
.LBB30_188:
	v_and_b32_e32 v13, 1, v1
	v_cmp_eq_u32_e64 s[18:19], 1, v13
	v_mov_b32_e32 v13, v20
	s_and_saveexec_b64 s[22:23], s[18:19]
	s_cbranch_execz .LBB30_192
; %bb.189:
	v_and_b32_e32 v13, 1, v28
	v_cmp_eq_u32_e64 s[18:19], 1, v13
	s_and_saveexec_b64 s[24:25], s[18:19]
; %bb.190:
	v_cmp_lt_f32_e64 s[18:19], v3, v20
	v_cndmask_b32_e64 v3, v3, v20, s[18:19]
	v_cmp_lt_f32_e64 s[18:19], v20, v2
	v_cndmask_b32_e64 v2, v2, v20, s[18:19]
	v_mov_b32_e32 v1, 1
; %bb.191:
	s_or_b64 exec, exec, s[24:25]
	v_mov_b32_e32 v20, v3
	v_mov_b32_e32 v13, v2
	;; [unrolled: 1-line block ×3, first 2 shown]
.LBB30_192:
	s_or_b64 exec, exec, s[22:23]
	v_mov_b32_e32 v1, v28
	v_mov_b32_e32 v2, v13
	;; [unrolled: 1-line block ×3, first 2 shown]
	s_or_b64 exec, exec, s[20:21]
	s_and_saveexec_b64 s[18:19], s[16:17]
	s_cbranch_execz .LBB30_130
.LBB30_193:
	v_and_b32_e32 v13, 1, v1
	v_cmp_eq_u32_e64 s[16:17], 1, v13
	v_mov_b32_e32 v13, v11
	s_and_saveexec_b64 s[20:21], s[16:17]
	s_cbranch_execz .LBB30_197
; %bb.194:
	v_and_b32_e32 v13, 1, v27
	v_cmp_eq_u32_e64 s[16:17], 1, v13
	s_and_saveexec_b64 s[22:23], s[16:17]
; %bb.195:
	v_cmp_lt_f32_e64 s[16:17], v3, v11
	v_cndmask_b32_e64 v3, v3, v11, s[16:17]
	v_cmp_lt_f32_e64 s[16:17], v11, v2
	v_cndmask_b32_e64 v2, v2, v11, s[16:17]
	v_mov_b32_e32 v1, 1
; %bb.196:
	s_or_b64 exec, exec, s[22:23]
	v_mov_b32_e32 v11, v3
	v_mov_b32_e32 v13, v2
	;; [unrolled: 1-line block ×3, first 2 shown]
.LBB30_197:
	s_or_b64 exec, exec, s[20:21]
	v_mov_b32_e32 v1, v27
	v_mov_b32_e32 v2, v13
	;; [unrolled: 1-line block ×3, first 2 shown]
	s_or_b64 exec, exec, s[18:19]
	s_and_saveexec_b64 s[16:17], s[14:15]
	s_cbranch_execz .LBB30_131
.LBB30_198:
	v_and_b32_e32 v11, 1, v1
	v_cmp_eq_u32_e64 s[14:15], 1, v11
	v_mov_b32_e32 v11, v17
	s_and_saveexec_b64 s[18:19], s[14:15]
	s_cbranch_execz .LBB30_202
; %bb.199:
	v_and_b32_e32 v11, 1, v25
	v_cmp_eq_u32_e64 s[14:15], 1, v11
	s_and_saveexec_b64 s[20:21], s[14:15]
; %bb.200:
	v_cmp_lt_f32_e64 s[14:15], v3, v17
	v_cndmask_b32_e64 v3, v3, v17, s[14:15]
	v_cmp_lt_f32_e64 s[14:15], v17, v2
	v_cndmask_b32_e64 v2, v2, v17, s[14:15]
	v_mov_b32_e32 v1, 1
; %bb.201:
	s_or_b64 exec, exec, s[20:21]
	v_mov_b32_e32 v17, v3
	v_mov_b32_e32 v11, v2
	;; [unrolled: 1-line block ×3, first 2 shown]
.LBB30_202:
	s_or_b64 exec, exec, s[18:19]
	v_mov_b32_e32 v1, v25
	v_mov_b32_e32 v2, v11
	;; [unrolled: 1-line block ×3, first 2 shown]
	s_or_b64 exec, exec, s[16:17]
	s_and_saveexec_b64 s[14:15], s[12:13]
	s_cbranch_execz .LBB30_132
.LBB30_203:
	v_and_b32_e32 v11, 1, v1
	v_cmp_eq_u32_e64 s[12:13], 1, v11
	v_mov_b32_e32 v11, v7
	s_and_saveexec_b64 s[16:17], s[12:13]
	s_cbranch_execz .LBB30_207
; %bb.204:
	v_and_b32_e32 v11, 1, v24
	v_cmp_eq_u32_e64 s[12:13], 1, v11
	s_and_saveexec_b64 s[18:19], s[12:13]
; %bb.205:
	v_cmp_lt_f32_e64 s[12:13], v3, v7
	v_cndmask_b32_e64 v3, v3, v7, s[12:13]
	v_cmp_lt_f32_e64 s[12:13], v7, v2
	v_cndmask_b32_e64 v2, v2, v7, s[12:13]
	v_mov_b32_e32 v1, 1
; %bb.206:
	s_or_b64 exec, exec, s[18:19]
	v_mov_b32_e32 v7, v3
	v_mov_b32_e32 v11, v2
	;; [unrolled: 1-line block ×3, first 2 shown]
.LBB30_207:
	s_or_b64 exec, exec, s[16:17]
	v_mov_b32_e32 v1, v24
	v_mov_b32_e32 v2, v11
	;; [unrolled: 1-line block ×3, first 2 shown]
	s_or_b64 exec, exec, s[14:15]
	s_and_saveexec_b64 s[12:13], s[10:11]
	s_cbranch_execz .LBB30_133
.LBB30_208:
	v_and_b32_e32 v7, 1, v1
	v_cmp_eq_u32_e64 s[10:11], 1, v7
	v_mov_b32_e32 v7, v14
	s_and_saveexec_b64 s[14:15], s[10:11]
	s_cbranch_execz .LBB30_212
; %bb.209:
	v_and_b32_e32 v7, 1, v22
	v_cmp_eq_u32_e64 s[10:11], 1, v7
	s_and_saveexec_b64 s[16:17], s[10:11]
; %bb.210:
	v_cmp_lt_f32_e64 s[10:11], v3, v14
	v_cndmask_b32_e64 v3, v3, v14, s[10:11]
	v_cmp_lt_f32_e64 s[10:11], v14, v2
	v_cndmask_b32_e64 v2, v2, v14, s[10:11]
	v_mov_b32_e32 v1, 1
; %bb.211:
	s_or_b64 exec, exec, s[16:17]
	v_mov_b32_e32 v14, v3
	v_mov_b32_e32 v7, v2
	;; [unrolled: 1-line block ×3, first 2 shown]
.LBB30_212:
	s_or_b64 exec, exec, s[14:15]
	v_mov_b32_e32 v1, v22
	v_mov_b32_e32 v2, v7
	;; [unrolled: 1-line block ×3, first 2 shown]
	s_or_b64 exec, exec, s[12:13]
	s_and_saveexec_b64 s[10:11], s[8:9]
	s_cbranch_execz .LBB30_134
.LBB30_213:
	v_and_b32_e32 v7, 1, v1
	v_cmp_eq_u32_e64 s[8:9], 1, v7
	v_mov_b32_e32 v7, v5
	s_and_saveexec_b64 s[12:13], s[8:9]
	s_cbranch_execz .LBB30_217
; %bb.214:
	v_and_b32_e32 v7, 1, v21
	v_cmp_eq_u32_e64 s[8:9], 1, v7
	s_and_saveexec_b64 s[14:15], s[8:9]
; %bb.215:
	v_cmp_lt_f32_e64 s[8:9], v3, v5
	v_cndmask_b32_e64 v3, v3, v5, s[8:9]
	v_cmp_lt_f32_e64 s[8:9], v5, v2
	v_cndmask_b32_e64 v2, v2, v5, s[8:9]
	v_mov_b32_e32 v1, 1
; %bb.216:
	s_or_b64 exec, exec, s[14:15]
	v_mov_b32_e32 v5, v3
	v_mov_b32_e32 v7, v2
	;; [unrolled: 1-line block ×3, first 2 shown]
.LBB30_217:
	s_or_b64 exec, exec, s[12:13]
	v_mov_b32_e32 v1, v21
	v_mov_b32_e32 v2, v7
	;; [unrolled: 1-line block ×3, first 2 shown]
	s_or_b64 exec, exec, s[10:11]
	s_and_saveexec_b64 s[8:9], s[4:5]
	s_cbranch_execz .LBB30_135
.LBB30_218:
	v_and_b32_e32 v5, 1, v1
	v_cmp_eq_u32_e64 s[4:5], 1, v5
	v_mov_b32_e32 v5, v12
	s_and_saveexec_b64 s[10:11], s[4:5]
	s_cbranch_execz .LBB30_222
; %bb.219:
	v_and_b32_e32 v5, 1, v19
	v_cmp_eq_u32_e64 s[4:5], 1, v5
	s_and_saveexec_b64 s[12:13], s[4:5]
; %bb.220:
	v_cmp_lt_f32_e64 s[4:5], v3, v12
	v_cndmask_b32_e64 v3, v3, v12, s[4:5]
	v_cmp_lt_f32_e64 s[4:5], v12, v2
	v_cndmask_b32_e64 v2, v2, v12, s[4:5]
	v_mov_b32_e32 v1, 1
; %bb.221:
	s_or_b64 exec, exec, s[12:13]
	v_mov_b32_e32 v12, v3
	v_mov_b32_e32 v5, v2
	;; [unrolled: 1-line block ×3, first 2 shown]
.LBB30_222:
	s_or_b64 exec, exec, s[10:11]
	v_mov_b32_e32 v1, v19
	v_mov_b32_e32 v2, v5
	;; [unrolled: 1-line block ×3, first 2 shown]
	s_or_b64 exec, exec, s[8:9]
	s_and_saveexec_b64 s[4:5], s[2:3]
	s_cbranch_execz .LBB30_136
.LBB30_223:
	v_and_b32_e32 v5, 1, v1
	v_cmp_eq_u32_e64 s[2:3], 1, v5
	v_mov_b32_e32 v5, v10
	s_and_saveexec_b64 s[8:9], s[2:3]
	s_cbranch_execz .LBB30_227
; %bb.224:
	v_and_b32_e32 v5, 1, v9
	v_cmp_eq_u32_e64 s[2:3], 1, v5
	s_and_saveexec_b64 s[10:11], s[2:3]
; %bb.225:
	v_cmp_lt_f32_e64 s[2:3], v3, v10
	v_cndmask_b32_e64 v3, v3, v10, s[2:3]
	v_cmp_lt_f32_e64 s[2:3], v10, v2
	v_cndmask_b32_e64 v2, v2, v10, s[2:3]
	v_mov_b32_e32 v1, 1
; %bb.226:
	s_or_b64 exec, exec, s[10:11]
	v_mov_b32_e32 v10, v3
	v_mov_b32_e32 v5, v2
	;; [unrolled: 1-line block ×3, first 2 shown]
.LBB30_227:
	s_or_b64 exec, exec, s[8:9]
	v_mov_b32_e32 v1, v9
	v_mov_b32_e32 v2, v5
	;; [unrolled: 1-line block ×3, first 2 shown]
	s_or_b64 exec, exec, s[4:5]
	s_and_saveexec_b64 s[2:3], s[0:1]
	s_cbranch_execz .LBB30_137
.LBB30_228:
	v_and_b32_e32 v5, 1, v1
	v_cmp_eq_u32_e64 s[0:1], 1, v5
	v_mov_b32_e32 v5, v8
	s_and_saveexec_b64 s[4:5], s[0:1]
	s_cbranch_execz .LBB30_232
; %bb.229:
	v_and_b32_e32 v5, 1, v16
	v_cmp_eq_u32_e64 s[0:1], 1, v5
	s_and_saveexec_b64 s[8:9], s[0:1]
; %bb.230:
	v_cmp_lt_f32_e64 s[0:1], v3, v8
	v_cndmask_b32_e64 v3, v3, v8, s[0:1]
	v_cmp_lt_f32_e64 s[0:1], v8, v2
	v_cndmask_b32_e64 v2, v2, v8, s[0:1]
	v_mov_b32_e32 v1, 1
; %bb.231:
	s_or_b64 exec, exec, s[8:9]
	v_mov_b32_e32 v8, v3
	v_mov_b32_e32 v5, v2
	;; [unrolled: 1-line block ×3, first 2 shown]
.LBB30_232:
	s_or_b64 exec, exec, s[4:5]
	v_mov_b32_e32 v1, v16
	v_mov_b32_e32 v2, v5
	;; [unrolled: 1-line block ×3, first 2 shown]
	s_or_b64 exec, exec, s[2:3]
	s_and_saveexec_b64 s[0:1], vcc
	s_cbranch_execz .LBB30_238
.LBB30_233:
	v_and_b32_e32 v5, 1, v1
	v_cmp_eq_u32_e32 vcc, 1, v5
	s_waitcnt vmcnt(0)
	v_mov_b32_e32 v5, v4
	s_and_saveexec_b64 s[2:3], vcc
	s_cbranch_execz .LBB30_237
; %bb.234:
	v_and_b32_e32 v5, 1, v6
	v_cmp_eq_u32_e32 vcc, 1, v5
	s_and_saveexec_b64 s[4:5], vcc
; %bb.235:
	v_cmp_lt_f32_e32 vcc, v3, v4
	v_cndmask_b32_e32 v3, v3, v4, vcc
	v_cmp_lt_f32_e32 vcc, v4, v2
	v_cndmask_b32_e32 v2, v2, v4, vcc
	v_mov_b32_e32 v1, 1
; %bb.236:
	s_or_b64 exec, exec, s[4:5]
	v_pk_mov_b32 v[4:5], v[2:3], v[2:3] op_sel:[0,1]
	v_mov_b32_e32 v6, v1
.LBB30_237:
	s_or_b64 exec, exec, s[2:3]
	v_mov_b32_e32 v1, v6
	v_pk_mov_b32 v[2:3], v[4:5], v[4:5] op_sel:[0,1]
.LBB30_238:
	s_or_b64 exec, exec, s[0:1]
	s_waitcnt vmcnt(0)
	v_mbcnt_lo_u32_b32 v4, -1, 0
	v_mbcnt_hi_u32_b32 v6, -1, v4
	v_and_b32_e32 v8, 63, v6
	s_min_u32 s8, s52, 0x100
	v_and_b32_e32 v4, 0xc0, v0
	v_cmp_ne_u32_e32 vcc, 63, v8
	v_sub_u32_e64 v7, s8, v4 clamp
	v_addc_co_u32_e32 v4, vcc, 0, v6, vcc
	v_and_b32_e32 v10, 0xffff, v1
	v_lshlrev_b32_e32 v5, 2, v4
	ds_bpermute_b32 v13, v5, v10
	ds_bpermute_b32 v4, v5, v2
	;; [unrolled: 1-line block ×3, first 2 shown]
	v_add_u32_e32 v9, 1, v8
	v_cmp_lt_u32_e32 vcc, v9, v7
	v_mov_b32_e32 v9, v10
	v_mov_b32_e32 v11, v2
	;; [unrolled: 1-line block ×3, first 2 shown]
	s_and_saveexec_b64 s[0:1], vcc
	s_xor_b64 s[0:1], exec, s[0:1]
	s_cbranch_execz .LBB30_244
; %bb.239:
	v_and_b32_e32 v1, 1, v1
	v_cmp_eq_u32_e32 vcc, 1, v1
	s_and_saveexec_b64 s[2:3], vcc
	s_cbranch_execz .LBB30_243
; %bb.240:
	s_waitcnt lgkmcnt(2)
	v_and_b32_e32 v1, 1, v13
	v_cmp_eq_u32_e32 vcc, 1, v1
	s_and_saveexec_b64 s[4:5], vcc
	s_cbranch_execz .LBB30_242
; %bb.241:
	s_waitcnt lgkmcnt(0)
	v_cmp_lt_f32_e32 vcc, v3, v5
	v_cndmask_b32_e32 v3, v3, v5, vcc
	v_cmp_gt_f32_e32 vcc, v2, v4
	v_cndmask_b32_e32 v2, v2, v4, vcc
	v_mov_b32_e32 v10, 1
.LBB30_242:
	s_or_b64 exec, exec, s[4:5]
	v_mov_b32_e32 v13, v10
	s_waitcnt lgkmcnt(0)
	v_pk_mov_b32 v[4:5], v[2:3], v[2:3] op_sel:[0,1]
.LBB30_243:
	s_or_b64 exec, exec, s[2:3]
	s_waitcnt lgkmcnt(2)
	v_and_b32_e32 v9, 0xff, v13
	s_waitcnt lgkmcnt(0)
	v_pk_mov_b32 v[2:3], v[4:5], v[4:5] op_sel:[0,1]
	v_mov_b32_e32 v10, v13
	v_mov_b32_e32 v11, v4
	;; [unrolled: 1-line block ×3, first 2 shown]
.LBB30_244:
	s_or_b64 exec, exec, s[0:1]
	v_cmp_gt_u32_e32 vcc, 62, v8
	v_cndmask_b32_e64 v1, 0, 1, vcc
	v_lshlrev_b32_e32 v1, 1, v1
	s_waitcnt lgkmcnt(0)
	v_add_lshl_u32 v5, v1, v6, 2
	ds_bpermute_b32 v1, v5, v9
	ds_bpermute_b32 v4, v5, v11
	;; [unrolled: 1-line block ×3, first 2 shown]
	v_add_u32_e32 v13, 2, v8
	v_cmp_lt_u32_e32 vcc, v13, v7
	s_and_saveexec_b64 s[0:1], vcc
	s_cbranch_execz .LBB30_250
; %bb.245:
	v_and_b32_e32 v9, 1, v10
	v_cmp_eq_u32_e32 vcc, 1, v9
	s_and_saveexec_b64 s[2:3], vcc
	s_cbranch_execz .LBB30_249
; %bb.246:
	s_waitcnt lgkmcnt(2)
	v_and_b32_e32 v1, 1, v1
	v_cmp_eq_u32_e32 vcc, 1, v1
	s_and_saveexec_b64 s[4:5], vcc
	s_cbranch_execz .LBB30_248
; %bb.247:
	s_waitcnt lgkmcnt(0)
	v_cmp_lt_f32_e32 vcc, v3, v5
	v_cndmask_b32_e32 v3, v3, v5, vcc
	v_cmp_lt_f32_e32 vcc, v4, v2
	v_cndmask_b32_e32 v2, v2, v4, vcc
	v_mov_b32_e32 v10, 1
.LBB30_248:
	s_or_b64 exec, exec, s[4:5]
	v_mov_b32_e32 v1, v10
	s_waitcnt lgkmcnt(0)
	v_pk_mov_b32 v[4:5], v[2:3], v[2:3] op_sel:[0,1]
.LBB30_249:
	s_or_b64 exec, exec, s[2:3]
	s_waitcnt lgkmcnt(2)
	v_and_b32_e32 v9, 0xff, v1
	s_waitcnt lgkmcnt(0)
	v_pk_mov_b32 v[2:3], v[4:5], v[4:5] op_sel:[0,1]
	v_mov_b32_e32 v10, v1
	v_mov_b32_e32 v11, v4
	;; [unrolled: 1-line block ×3, first 2 shown]
.LBB30_250:
	s_or_b64 exec, exec, s[0:1]
	v_cmp_gt_u32_e32 vcc, 60, v8
	s_waitcnt lgkmcnt(2)
	v_cndmask_b32_e64 v1, 0, 1, vcc
	v_lshlrev_b32_e32 v1, 2, v1
	s_waitcnt lgkmcnt(0)
	v_add_lshl_u32 v5, v1, v6, 2
	ds_bpermute_b32 v1, v5, v9
	ds_bpermute_b32 v4, v5, v11
	ds_bpermute_b32 v5, v5, v12
	v_add_u32_e32 v13, 4, v8
	v_cmp_lt_u32_e32 vcc, v13, v7
	s_and_saveexec_b64 s[0:1], vcc
	s_cbranch_execz .LBB30_256
; %bb.251:
	v_and_b32_e32 v9, 1, v10
	v_cmp_eq_u32_e32 vcc, 1, v9
	s_and_saveexec_b64 s[2:3], vcc
	s_cbranch_execz .LBB30_255
; %bb.252:
	s_waitcnt lgkmcnt(2)
	v_and_b32_e32 v1, 1, v1
	v_cmp_eq_u32_e32 vcc, 1, v1
	s_and_saveexec_b64 s[4:5], vcc
	s_cbranch_execz .LBB30_254
; %bb.253:
	s_waitcnt lgkmcnt(0)
	v_cmp_lt_f32_e32 vcc, v3, v5
	v_cndmask_b32_e32 v3, v3, v5, vcc
	v_cmp_lt_f32_e32 vcc, v4, v2
	v_cndmask_b32_e32 v2, v2, v4, vcc
	v_mov_b32_e32 v10, 1
.LBB30_254:
	s_or_b64 exec, exec, s[4:5]
	v_mov_b32_e32 v1, v10
	s_waitcnt lgkmcnt(0)
	v_pk_mov_b32 v[4:5], v[2:3], v[2:3] op_sel:[0,1]
.LBB30_255:
	s_or_b64 exec, exec, s[2:3]
	s_waitcnt lgkmcnt(2)
	v_and_b32_e32 v9, 0xff, v1
	s_waitcnt lgkmcnt(0)
	v_pk_mov_b32 v[2:3], v[4:5], v[4:5] op_sel:[0,1]
	v_mov_b32_e32 v10, v1
	v_mov_b32_e32 v11, v4
	v_mov_b32_e32 v12, v5
.LBB30_256:
	s_or_b64 exec, exec, s[0:1]
	v_cmp_gt_u32_e32 vcc, 56, v8
	s_waitcnt lgkmcnt(2)
	v_cndmask_b32_e64 v1, 0, 1, vcc
	v_lshlrev_b32_e32 v1, 3, v1
	s_waitcnt lgkmcnt(0)
	v_add_lshl_u32 v5, v1, v6, 2
	ds_bpermute_b32 v1, v5, v9
	ds_bpermute_b32 v4, v5, v11
	;; [unrolled: 1-line block ×3, first 2 shown]
	v_add_u32_e32 v13, 8, v8
	v_cmp_lt_u32_e32 vcc, v13, v7
	s_and_saveexec_b64 s[0:1], vcc
	s_cbranch_execz .LBB30_262
; %bb.257:
	v_and_b32_e32 v9, 1, v10
	v_cmp_eq_u32_e32 vcc, 1, v9
	s_and_saveexec_b64 s[2:3], vcc
	s_cbranch_execz .LBB30_261
; %bb.258:
	s_waitcnt lgkmcnt(2)
	v_and_b32_e32 v1, 1, v1
	v_cmp_eq_u32_e32 vcc, 1, v1
	s_and_saveexec_b64 s[4:5], vcc
	s_cbranch_execz .LBB30_260
; %bb.259:
	s_waitcnt lgkmcnt(0)
	v_cmp_gt_f32_e32 vcc, v5, v3
	v_cndmask_b32_e32 v3, v3, v5, vcc
	v_cmp_gt_f32_e32 vcc, v2, v4
	v_cndmask_b32_e32 v2, v2, v4, vcc
	v_mov_b32_e32 v10, 1
.LBB30_260:
	s_or_b64 exec, exec, s[4:5]
	v_mov_b32_e32 v1, v10
	s_waitcnt lgkmcnt(0)
	v_pk_mov_b32 v[4:5], v[2:3], v[2:3] op_sel:[0,1]
.LBB30_261:
	s_or_b64 exec, exec, s[2:3]
	s_waitcnt lgkmcnt(2)
	v_and_b32_e32 v9, 0xff, v1
	s_waitcnt lgkmcnt(0)
	v_pk_mov_b32 v[2:3], v[4:5], v[4:5] op_sel:[0,1]
	v_mov_b32_e32 v10, v1
	v_mov_b32_e32 v11, v4
	;; [unrolled: 1-line block ×3, first 2 shown]
.LBB30_262:
	s_or_b64 exec, exec, s[0:1]
	v_cmp_gt_u32_e32 vcc, 48, v8
	s_waitcnt lgkmcnt(2)
	v_cndmask_b32_e64 v1, 0, 1, vcc
	v_lshlrev_b32_e32 v1, 4, v1
	s_waitcnt lgkmcnt(0)
	v_add_lshl_u32 v5, v1, v6, 2
	ds_bpermute_b32 v1, v5, v9
	ds_bpermute_b32 v4, v5, v11
	ds_bpermute_b32 v5, v5, v12
	v_add_u32_e32 v13, 16, v8
	v_cmp_lt_u32_e32 vcc, v13, v7
	s_and_saveexec_b64 s[0:1], vcc
	s_cbranch_execz .LBB30_268
; %bb.263:
	v_and_b32_e32 v9, 1, v10
	v_cmp_eq_u32_e32 vcc, 1, v9
	s_and_saveexec_b64 s[2:3], vcc
	s_cbranch_execz .LBB30_267
; %bb.264:
	s_waitcnt lgkmcnt(2)
	v_and_b32_e32 v1, 1, v1
	v_cmp_eq_u32_e32 vcc, 1, v1
	s_and_saveexec_b64 s[4:5], vcc
	s_cbranch_execz .LBB30_266
; %bb.265:
	s_waitcnt lgkmcnt(0)
	v_cmp_gt_f32_e32 vcc, v5, v3
	v_cndmask_b32_e32 v3, v3, v5, vcc
	v_cmp_gt_f32_e32 vcc, v2, v4
	v_cndmask_b32_e32 v2, v2, v4, vcc
	v_mov_b32_e32 v10, 1
.LBB30_266:
	s_or_b64 exec, exec, s[4:5]
	v_mov_b32_e32 v1, v10
	s_waitcnt lgkmcnt(0)
	v_pk_mov_b32 v[4:5], v[2:3], v[2:3] op_sel:[0,1]
.LBB30_267:
	s_or_b64 exec, exec, s[2:3]
	s_waitcnt lgkmcnt(2)
	v_and_b32_e32 v9, 0xff, v1
	s_waitcnt lgkmcnt(0)
	v_pk_mov_b32 v[2:3], v[4:5], v[4:5] op_sel:[0,1]
	v_mov_b32_e32 v10, v1
	v_mov_b32_e32 v11, v4
	;; [unrolled: 1-line block ×3, first 2 shown]
.LBB30_268:
	s_or_b64 exec, exec, s[0:1]
	v_cmp_gt_u32_e32 vcc, 32, v8
	s_waitcnt lgkmcnt(2)
	v_cndmask_b32_e64 v1, 0, 1, vcc
	v_lshlrev_b32_e32 v1, 5, v1
	s_waitcnt lgkmcnt(0)
	v_add_lshl_u32 v5, v1, v6, 2
	ds_bpermute_b32 v1, v5, v9
	ds_bpermute_b32 v4, v5, v11
	;; [unrolled: 1-line block ×3, first 2 shown]
	v_add_u32_e32 v8, 32, v8
	v_cmp_lt_u32_e32 vcc, v8, v7
	s_and_saveexec_b64 s[0:1], vcc
	s_cbranch_execz .LBB30_274
; %bb.269:
	v_and_b32_e32 v7, 1, v10
	v_cmp_eq_u32_e32 vcc, 1, v7
	s_and_saveexec_b64 s[2:3], vcc
	s_cbranch_execz .LBB30_273
; %bb.270:
	s_waitcnt lgkmcnt(2)
	v_and_b32_e32 v1, 1, v1
	v_cmp_eq_u32_e32 vcc, 1, v1
	s_and_saveexec_b64 s[4:5], vcc
	s_cbranch_execz .LBB30_272
; %bb.271:
	s_waitcnt lgkmcnt(0)
	v_cmp_gt_f32_e32 vcc, v5, v3
	v_cndmask_b32_e32 v3, v3, v5, vcc
	v_cmp_gt_f32_e32 vcc, v2, v4
	v_cndmask_b32_e32 v2, v2, v4, vcc
	v_mov_b32_e32 v10, 1
.LBB30_272:
	s_or_b64 exec, exec, s[4:5]
	v_mov_b32_e32 v1, v10
	s_waitcnt lgkmcnt(0)
	v_pk_mov_b32 v[4:5], v[2:3], v[2:3] op_sel:[0,1]
.LBB30_273:
	s_or_b64 exec, exec, s[2:3]
	s_waitcnt lgkmcnt(2)
	v_and_b32_e32 v9, 0xff, v1
	s_waitcnt lgkmcnt(0)
	v_pk_mov_b32 v[2:3], v[4:5], v[4:5] op_sel:[0,1]
	v_mov_b32_e32 v10, v1
.LBB30_274:
	s_or_b64 exec, exec, s[0:1]
	v_cmp_eq_u32_e32 vcc, 0, v6
	s_and_saveexec_b64 s[0:1], vcc
	s_cbranch_execz .LBB30_276
; %bb.275:
	s_waitcnt lgkmcnt(2)
	v_lshrrev_b32_e32 v1, 6, v0
	v_mul_u32_u24_e32 v1, 12, v1
	ds_write_b8 v1, v10
	ds_write2_b32 v1, v2, v3 offset0:1 offset1:2
.LBB30_276:
	s_or_b64 exec, exec, s[0:1]
	v_cmp_gt_u32_e32 vcc, 4, v0
	s_waitcnt lgkmcnt(0)
	s_barrier
	s_and_saveexec_b64 s[0:1], vcc
	s_cbranch_execz .LBB30_290
; %bb.277:
	v_mul_u32_u24_e32 v2, 12, v6
	ds_read_u8 v1, v2
	ds_read2_b32 v[2:3], v2 offset0:1 offset1:2
	v_and_b32_e32 v7, 3, v6
	v_cmp_ne_u32_e32 vcc, 3, v7
	v_addc_co_u32_e32 v4, vcc, 0, v6, vcc
	s_waitcnt lgkmcnt(1)
	v_and_b32_e32 v9, 0xff, v1
	v_lshlrev_b32_e32 v5, 2, v4
	ds_bpermute_b32 v8, v5, v9
	s_waitcnt lgkmcnt(1)
	ds_bpermute_b32 v4, v5, v2
	ds_bpermute_b32 v5, v5, v3
	s_add_i32 s8, s8, 63
	s_lshr_b32 s10, s8, 6
	v_add_u32_e32 v10, 1, v7
	v_cmp_gt_u32_e32 vcc, s10, v10
	v_mov_b32_e32 v10, v2
	v_mov_b32_e32 v11, v3
	s_and_saveexec_b64 s[2:3], vcc
	s_cbranch_execz .LBB30_283
; %bb.278:
	v_and_b32_e32 v9, 1, v1
	v_cmp_eq_u32_e32 vcc, 1, v9
	s_and_saveexec_b64 s[4:5], vcc
	s_cbranch_execz .LBB30_282
; %bb.279:
	s_waitcnt lgkmcnt(2)
	v_and_b32_e32 v8, 1, v8
	v_cmp_eq_u32_e32 vcc, 1, v8
	s_and_saveexec_b64 s[8:9], vcc
	s_cbranch_execz .LBB30_281
; %bb.280:
	s_waitcnt lgkmcnt(0)
	v_cmp_gt_f32_e32 vcc, v5, v3
	v_cndmask_b32_e32 v3, v3, v5, vcc
	v_cmp_gt_f32_e32 vcc, v2, v4
	v_cndmask_b32_e32 v2, v2, v4, vcc
	v_mov_b32_e32 v1, 1
.LBB30_281:
	s_or_b64 exec, exec, s[8:9]
	v_mov_b32_e32 v8, v1
	s_waitcnt lgkmcnt(0)
	v_pk_mov_b32 v[4:5], v[2:3], v[2:3] op_sel:[0,1]
.LBB30_282:
	s_or_b64 exec, exec, s[4:5]
	s_waitcnt lgkmcnt(2)
	v_and_b32_e32 v9, 0xff, v8
	s_waitcnt lgkmcnt(0)
	v_pk_mov_b32 v[2:3], v[4:5], v[4:5] op_sel:[0,1]
	v_mov_b32_e32 v1, v8
	v_mov_b32_e32 v10, v4
	;; [unrolled: 1-line block ×3, first 2 shown]
.LBB30_283:
	s_or_b64 exec, exec, s[2:3]
	v_cmp_gt_u32_e32 vcc, 2, v7
	s_waitcnt lgkmcnt(1)
	v_cndmask_b32_e64 v4, 0, 1, vcc
	v_lshlrev_b32_e32 v4, 1, v4
	s_waitcnt lgkmcnt(0)
	v_add_lshl_u32 v5, v4, v6, 2
	ds_bpermute_b32 v6, v5, v9
	ds_bpermute_b32 v4, v5, v10
	;; [unrolled: 1-line block ×3, first 2 shown]
	v_add_u32_e32 v7, 2, v7
	v_cmp_gt_u32_e32 vcc, s10, v7
	s_and_saveexec_b64 s[2:3], vcc
	s_cbranch_execz .LBB30_289
; %bb.284:
	v_and_b32_e32 v7, 1, v1
	v_cmp_eq_u32_e32 vcc, 1, v7
	s_and_saveexec_b64 s[4:5], vcc
	s_cbranch_execz .LBB30_288
; %bb.285:
	s_waitcnt lgkmcnt(2)
	v_and_b32_e32 v6, 1, v6
	v_cmp_eq_u32_e32 vcc, 1, v6
	s_and_saveexec_b64 s[8:9], vcc
	s_cbranch_execz .LBB30_287
; %bb.286:
	s_waitcnt lgkmcnt(0)
	v_cmp_gt_f32_e32 vcc, v5, v3
	v_cndmask_b32_e32 v3, v3, v5, vcc
	v_cmp_gt_f32_e32 vcc, v2, v4
	v_cndmask_b32_e32 v2, v2, v4, vcc
	v_mov_b32_e32 v1, 1
.LBB30_287:
	s_or_b64 exec, exec, s[8:9]
	v_mov_b32_e32 v6, v1
	s_waitcnt lgkmcnt(0)
	v_pk_mov_b32 v[4:5], v[2:3], v[2:3] op_sel:[0,1]
.LBB30_288:
	s_or_b64 exec, exec, s[4:5]
	s_waitcnt lgkmcnt(2)
	v_and_b32_e32 v9, 0xff, v6
	s_waitcnt lgkmcnt(0)
	v_pk_mov_b32 v[2:3], v[4:5], v[4:5] op_sel:[0,1]
.LBB30_289:
	s_or_b64 exec, exec, s[2:3]
.LBB30_290:
	s_or_b64 exec, exec, s[0:1]
.LBB30_291:
	v_cmp_eq_u32_e32 vcc, 0, v0
	s_mov_b64 s[18:19], 0
                                        ; implicit-def: $vgpr4_vgpr5
                                        ; implicit-def: $vgpr1
	s_and_saveexec_b64 s[0:1], vcc
	s_xor_b64 s[4:5], exec, s[0:1]
	s_cbranch_execz .LBB30_297
; %bb.292:
	s_cmp_eq_u64 s[40:41], 0
	s_waitcnt lgkmcnt(0)
	v_pk_mov_b32 v[4:5], s[44:45], s[44:45] op_sel:[0,1]
	v_mov_b32_e32 v1, s33
	s_cbranch_scc1 .LBB30_296
; %bb.293:
	s_bitcmp0_b32 s33, 0
	s_cbranch_scc1 .LBB30_295
; %bb.294:
	v_and_b32_e32 v1, 1, v9
	v_cmp_lt_f32_e32 vcc, s45, v3
	v_cmp_eq_u32_e64 s[2:3], 1, v1
	v_cmp_gt_f32_e64 s[0:1], s44, v2
	v_mov_b32_e32 v1, s45
	s_and_b64 vcc, s[2:3], vcc
	v_mov_b32_e32 v4, s33
	v_cndmask_b32_e32 v3, v1, v3, vcc
	v_mov_b32_e32 v1, s44
	s_and_b64 vcc, s[2:3], s[0:1]
	v_cndmask_b32_e64 v9, v4, 1, s[2:3]
	v_cndmask_b32_e32 v2, v1, v2, vcc
.LBB30_295:
	v_pk_mov_b32 v[4:5], v[2:3], v[2:3] op_sel:[0,1]
	v_mov_b32_e32 v1, v9
.LBB30_296:
	s_mov_b64 s[18:19], exec
.LBB30_297:
	s_or_b64 exec, exec, s[4:5]
	s_and_b64 vcc, exec, s[48:49]
	s_cbranch_vccnz .LBB30_48
.LBB30_298:
	s_branch .LBB30_437
.LBB30_299:
	v_lshlrev_b32_e32 v4, 2, v3
	global_load_dword v4, v4, s[20:21]
	s_abs_i32 s20, s39
	v_cvt_f32_u32_e32 v7, s20
	v_add_u32_e32 v3, s24, v3
	v_sub_u32_e32 v19, 0, v3
	s_sub_i32 s14, 0, s20
	v_rcp_iflag_f32_e32 v7, v7
	v_ashrrev_i32_e32 v18, 31, v3
	v_max_i32_e32 v3, v3, v19
	v_mul_f32_e32 v7, 0x4f7ffffe, v7
	v_cvt_u32_f32_e32 v7, v7
	v_mul_lo_u32 v19, s14, v7
	v_mul_hi_u32 v19, v7, v19
	v_add_u32_e32 v7, v7, v19
	v_mul_hi_u32 v7, v3, v7
	v_mul_lo_u32 v7, v7, s20
	v_sub_u32_e32 v3, v3, v7
	v_subrev_u32_e32 v7, s20, v3
	v_cmp_le_u32_e64 s[14:15], s20, v3
	v_cndmask_b32_e64 v3, v3, v7, s[14:15]
	v_subrev_u32_e32 v7, s20, v3
	v_cmp_le_u32_e64 s[14:15], s20, v3
	v_cndmask_b32_e64 v3, v3, v7, s[14:15]
	v_xor_b32_e32 v3, v3, v18
	v_sub_u32_e32 v3, v3, v18
	v_cmp_gt_i32_e64 s[14:15], s38, v3
	v_cndmask_b32_e64 v7, 0, 1, s[14:15]
	s_or_b64 exec, exec, s[16:17]
	s_waitcnt vmcnt(1)
	v_mov_b32_e32 v3, v2
	s_and_saveexec_b64 s[14:15], s[12:13]
	s_cbranch_execz .LBB30_156
.LBB30_300:
	v_and_b32_e32 v3, 1, v1
	v_cmp_eq_u32_e64 s[12:13], 1, v3
	v_mov_b32_e32 v3, v8
	s_and_saveexec_b64 s[16:17], s[12:13]
	s_cbranch_execz .LBB30_304
; %bb.301:
	v_and_b32_e32 v3, 1, v17
	v_cmp_eq_u32_e64 s[12:13], 1, v3
	v_mov_b32_e32 v3, v2
	s_and_saveexec_b64 s[20:21], s[12:13]
; %bb.302:
	v_cmp_lt_f32_e64 s[12:13], v2, v8
	v_cndmask_b32_e64 v17, v2, v8, s[12:13]
	v_cmp_lt_f32_e64 s[12:13], v8, v2
	v_cndmask_b32_e64 v3, v2, v8, s[12:13]
	v_mov_b32_e32 v1, 1
	v_mov_b32_e32 v2, v17
; %bb.303:
	s_or_b64 exec, exec, s[20:21]
	v_mov_b32_e32 v8, v2
	v_mov_b32_e32 v17, v1
.LBB30_304:
	s_or_b64 exec, exec, s[16:17]
	v_mov_b32_e32 v1, v17
	v_mov_b32_e32 v2, v3
	;; [unrolled: 1-line block ×3, first 2 shown]
	s_or_b64 exec, exec, s[14:15]
	s_and_saveexec_b64 s[12:13], s[10:11]
	s_cbranch_execz .LBB30_157
.LBB30_305:
	v_and_b32_e32 v8, 1, v1
	v_cmp_eq_u32_e64 s[10:11], 1, v8
	v_mov_b32_e32 v8, v11
	s_and_saveexec_b64 s[14:15], s[10:11]
	s_cbranch_execz .LBB30_309
; %bb.306:
	v_and_b32_e32 v8, 1, v16
	v_cmp_eq_u32_e64 s[10:11], 1, v8
	s_and_saveexec_b64 s[16:17], s[10:11]
; %bb.307:
	v_cmp_lt_f32_e64 s[10:11], v3, v11
	v_cndmask_b32_e64 v3, v3, v11, s[10:11]
	v_cmp_lt_f32_e64 s[10:11], v11, v2
	v_cndmask_b32_e64 v2, v2, v11, s[10:11]
	v_mov_b32_e32 v1, 1
; %bb.308:
	s_or_b64 exec, exec, s[16:17]
	v_mov_b32_e32 v11, v3
	v_mov_b32_e32 v8, v2
	v_mov_b32_e32 v16, v1
.LBB30_309:
	s_or_b64 exec, exec, s[14:15]
	v_mov_b32_e32 v1, v16
	v_mov_b32_e32 v2, v8
	;; [unrolled: 1-line block ×3, first 2 shown]
	s_or_b64 exec, exec, s[12:13]
	s_and_saveexec_b64 s[10:11], s[8:9]
	s_cbranch_execz .LBB30_158
.LBB30_310:
	v_and_b32_e32 v8, 1, v1
	v_cmp_eq_u32_e64 s[8:9], 1, v8
	v_mov_b32_e32 v8, v6
	s_and_saveexec_b64 s[12:13], s[8:9]
	s_cbranch_execz .LBB30_314
; %bb.311:
	v_and_b32_e32 v8, 1, v15
	v_cmp_eq_u32_e64 s[8:9], 1, v8
	s_and_saveexec_b64 s[14:15], s[8:9]
; %bb.312:
	v_cmp_lt_f32_e64 s[8:9], v3, v6
	v_cndmask_b32_e64 v3, v3, v6, s[8:9]
	v_cmp_lt_f32_e64 s[8:9], v6, v2
	v_cndmask_b32_e64 v2, v2, v6, s[8:9]
	v_mov_b32_e32 v1, 1
; %bb.313:
	s_or_b64 exec, exec, s[14:15]
	v_mov_b32_e32 v6, v3
	v_mov_b32_e32 v8, v2
	;; [unrolled: 1-line block ×3, first 2 shown]
.LBB30_314:
	s_or_b64 exec, exec, s[12:13]
	v_mov_b32_e32 v1, v15
	v_mov_b32_e32 v2, v8
	;; [unrolled: 1-line block ×3, first 2 shown]
	s_or_b64 exec, exec, s[10:11]
	s_and_saveexec_b64 s[8:9], s[4:5]
	s_cbranch_execz .LBB30_159
.LBB30_315:
	v_and_b32_e32 v6, 1, v1
	v_cmp_eq_u32_e64 s[4:5], 1, v6
	v_mov_b32_e32 v6, v10
	s_and_saveexec_b64 s[10:11], s[4:5]
	s_cbranch_execz .LBB30_319
; %bb.316:
	v_and_b32_e32 v6, 1, v14
	v_cmp_eq_u32_e64 s[4:5], 1, v6
	s_and_saveexec_b64 s[12:13], s[4:5]
; %bb.317:
	v_cmp_lt_f32_e64 s[4:5], v3, v10
	v_cndmask_b32_e64 v3, v3, v10, s[4:5]
	v_cmp_lt_f32_e64 s[4:5], v10, v2
	v_cndmask_b32_e64 v2, v2, v10, s[4:5]
	v_mov_b32_e32 v1, 1
; %bb.318:
	s_or_b64 exec, exec, s[12:13]
	v_mov_b32_e32 v10, v3
	v_mov_b32_e32 v6, v2
	;; [unrolled: 1-line block ×3, first 2 shown]
.LBB30_319:
	s_or_b64 exec, exec, s[10:11]
	v_mov_b32_e32 v1, v14
	v_mov_b32_e32 v2, v6
	;; [unrolled: 1-line block ×3, first 2 shown]
	s_or_b64 exec, exec, s[8:9]
	s_and_saveexec_b64 s[4:5], s[2:3]
	s_cbranch_execz .LBB30_160
.LBB30_320:
	v_and_b32_e32 v6, 1, v1
	v_cmp_eq_u32_e64 s[2:3], 1, v6
	v_mov_b32_e32 v6, v5
	s_and_saveexec_b64 s[8:9], s[2:3]
	s_cbranch_execz .LBB30_324
; %bb.321:
	v_and_b32_e32 v6, 1, v13
	v_cmp_eq_u32_e64 s[2:3], 1, v6
	s_and_saveexec_b64 s[10:11], s[2:3]
; %bb.322:
	v_cmp_lt_f32_e64 s[2:3], v3, v5
	v_cndmask_b32_e64 v3, v3, v5, s[2:3]
	v_cmp_lt_f32_e64 s[2:3], v5, v2
	v_cndmask_b32_e64 v2, v2, v5, s[2:3]
	v_mov_b32_e32 v1, 1
; %bb.323:
	s_or_b64 exec, exec, s[10:11]
	v_mov_b32_e32 v5, v3
	v_mov_b32_e32 v6, v2
	v_mov_b32_e32 v13, v1
.LBB30_324:
	s_or_b64 exec, exec, s[8:9]
	v_mov_b32_e32 v1, v13
	v_mov_b32_e32 v2, v6
	;; [unrolled: 1-line block ×3, first 2 shown]
	s_or_b64 exec, exec, s[4:5]
	s_and_saveexec_b64 s[2:3], s[0:1]
	s_cbranch_execz .LBB30_161
.LBB30_325:
	v_and_b32_e32 v5, 1, v1
	v_cmp_eq_u32_e64 s[0:1], 1, v5
	v_mov_b32_e32 v5, v9
	s_and_saveexec_b64 s[4:5], s[0:1]
	s_cbranch_execz .LBB30_329
; %bb.326:
	v_and_b32_e32 v5, 1, v12
	v_cmp_eq_u32_e64 s[0:1], 1, v5
	s_and_saveexec_b64 s[8:9], s[0:1]
; %bb.327:
	v_cmp_lt_f32_e64 s[0:1], v3, v9
	v_cndmask_b32_e64 v3, v3, v9, s[0:1]
	v_cmp_lt_f32_e64 s[0:1], v9, v2
	v_cndmask_b32_e64 v2, v2, v9, s[0:1]
	v_mov_b32_e32 v1, 1
; %bb.328:
	s_or_b64 exec, exec, s[8:9]
	v_mov_b32_e32 v9, v3
	v_mov_b32_e32 v5, v2
	;; [unrolled: 1-line block ×3, first 2 shown]
.LBB30_329:
	s_or_b64 exec, exec, s[4:5]
	v_mov_b32_e32 v1, v12
	v_mov_b32_e32 v2, v5
	;; [unrolled: 1-line block ×3, first 2 shown]
	s_or_b64 exec, exec, s[2:3]
	s_and_saveexec_b64 s[0:1], vcc
	s_cbranch_execz .LBB30_335
.LBB30_330:
	v_and_b32_e32 v5, 1, v1
	v_cmp_eq_u32_e32 vcc, 1, v5
	s_waitcnt vmcnt(0)
	v_mov_b32_e32 v5, v4
	s_and_saveexec_b64 s[2:3], vcc
	s_cbranch_execz .LBB30_334
; %bb.331:
	v_and_b32_e32 v5, 1, v7
	v_cmp_eq_u32_e32 vcc, 1, v5
	s_and_saveexec_b64 s[4:5], vcc
; %bb.332:
	v_cmp_lt_f32_e32 vcc, v3, v4
	v_cndmask_b32_e32 v3, v3, v4, vcc
	v_cmp_lt_f32_e32 vcc, v4, v2
	v_cndmask_b32_e32 v2, v2, v4, vcc
	v_mov_b32_e32 v1, 1
; %bb.333:
	s_or_b64 exec, exec, s[4:5]
	v_pk_mov_b32 v[4:5], v[2:3], v[2:3] op_sel:[0,1]
	v_mov_b32_e32 v7, v1
.LBB30_334:
	s_or_b64 exec, exec, s[2:3]
	v_mov_b32_e32 v1, v7
	v_pk_mov_b32 v[2:3], v[4:5], v[4:5] op_sel:[0,1]
.LBB30_335:
	s_or_b64 exec, exec, s[0:1]
	s_waitcnt vmcnt(0)
	v_mbcnt_lo_u32_b32 v4, -1, 0
	v_mbcnt_hi_u32_b32 v6, -1, v4
	v_and_b32_e32 v8, 63, v6
	s_min_u32 s8, s22, 0x100
	v_and_b32_e32 v4, 0xc0, v0
	v_cmp_ne_u32_e32 vcc, 63, v8
	v_sub_u32_e64 v7, s8, v4 clamp
	v_addc_co_u32_e32 v4, vcc, 0, v6, vcc
	v_and_b32_e32 v10, 0xffff, v1
	v_lshlrev_b32_e32 v5, 2, v4
	ds_bpermute_b32 v13, v5, v10
	ds_bpermute_b32 v4, v5, v2
	;; [unrolled: 1-line block ×3, first 2 shown]
	v_add_u32_e32 v9, 1, v8
	v_cmp_lt_u32_e32 vcc, v9, v7
	v_mov_b32_e32 v9, v10
	v_mov_b32_e32 v11, v2
	;; [unrolled: 1-line block ×3, first 2 shown]
	s_and_saveexec_b64 s[0:1], vcc
	s_xor_b64 s[0:1], exec, s[0:1]
	s_cbranch_execz .LBB30_341
; %bb.336:
	v_and_b32_e32 v1, 1, v1
	v_cmp_eq_u32_e32 vcc, 1, v1
	s_and_saveexec_b64 s[2:3], vcc
	s_cbranch_execz .LBB30_340
; %bb.337:
	s_waitcnt lgkmcnt(2)
	v_and_b32_e32 v1, 1, v13
	v_cmp_eq_u32_e32 vcc, 1, v1
	s_and_saveexec_b64 s[4:5], vcc
	s_cbranch_execz .LBB30_339
; %bb.338:
	s_waitcnt lgkmcnt(0)
	v_cmp_lt_f32_e32 vcc, v3, v5
	v_cndmask_b32_e32 v3, v3, v5, vcc
	v_cmp_gt_f32_e32 vcc, v2, v4
	v_cndmask_b32_e32 v2, v2, v4, vcc
	v_mov_b32_e32 v10, 1
.LBB30_339:
	s_or_b64 exec, exec, s[4:5]
	v_mov_b32_e32 v13, v10
	s_waitcnt lgkmcnt(0)
	v_pk_mov_b32 v[4:5], v[2:3], v[2:3] op_sel:[0,1]
.LBB30_340:
	s_or_b64 exec, exec, s[2:3]
	s_waitcnt lgkmcnt(2)
	v_and_b32_e32 v9, 0xff, v13
	s_waitcnt lgkmcnt(0)
	v_pk_mov_b32 v[2:3], v[4:5], v[4:5] op_sel:[0,1]
	v_mov_b32_e32 v10, v13
	v_mov_b32_e32 v11, v4
	;; [unrolled: 1-line block ×3, first 2 shown]
.LBB30_341:
	s_or_b64 exec, exec, s[0:1]
	v_cmp_gt_u32_e32 vcc, 62, v8
	v_cndmask_b32_e64 v1, 0, 1, vcc
	v_lshlrev_b32_e32 v1, 1, v1
	s_waitcnt lgkmcnt(0)
	v_add_lshl_u32 v5, v1, v6, 2
	ds_bpermute_b32 v1, v5, v9
	ds_bpermute_b32 v4, v5, v11
	;; [unrolled: 1-line block ×3, first 2 shown]
	v_add_u32_e32 v13, 2, v8
	v_cmp_lt_u32_e32 vcc, v13, v7
	s_and_saveexec_b64 s[0:1], vcc
	s_cbranch_execz .LBB30_347
; %bb.342:
	v_and_b32_e32 v9, 1, v10
	v_cmp_eq_u32_e32 vcc, 1, v9
	s_and_saveexec_b64 s[2:3], vcc
	s_cbranch_execz .LBB30_346
; %bb.343:
	s_waitcnt lgkmcnt(2)
	v_and_b32_e32 v1, 1, v1
	v_cmp_eq_u32_e32 vcc, 1, v1
	s_and_saveexec_b64 s[4:5], vcc
	s_cbranch_execz .LBB30_345
; %bb.344:
	s_waitcnt lgkmcnt(0)
	v_cmp_lt_f32_e32 vcc, v3, v5
	v_cndmask_b32_e32 v3, v3, v5, vcc
	v_cmp_lt_f32_e32 vcc, v4, v2
	v_cndmask_b32_e32 v2, v2, v4, vcc
	v_mov_b32_e32 v10, 1
.LBB30_345:
	s_or_b64 exec, exec, s[4:5]
	v_mov_b32_e32 v1, v10
	s_waitcnt lgkmcnt(0)
	v_pk_mov_b32 v[4:5], v[2:3], v[2:3] op_sel:[0,1]
.LBB30_346:
	s_or_b64 exec, exec, s[2:3]
	s_waitcnt lgkmcnt(2)
	v_and_b32_e32 v9, 0xff, v1
	s_waitcnt lgkmcnt(0)
	v_pk_mov_b32 v[2:3], v[4:5], v[4:5] op_sel:[0,1]
	v_mov_b32_e32 v10, v1
	v_mov_b32_e32 v11, v4
	v_mov_b32_e32 v12, v5
.LBB30_347:
	s_or_b64 exec, exec, s[0:1]
	v_cmp_gt_u32_e32 vcc, 60, v8
	s_waitcnt lgkmcnt(2)
	v_cndmask_b32_e64 v1, 0, 1, vcc
	v_lshlrev_b32_e32 v1, 2, v1
	s_waitcnt lgkmcnt(0)
	v_add_lshl_u32 v5, v1, v6, 2
	ds_bpermute_b32 v1, v5, v9
	ds_bpermute_b32 v4, v5, v11
	;; [unrolled: 1-line block ×3, first 2 shown]
	v_add_u32_e32 v13, 4, v8
	v_cmp_lt_u32_e32 vcc, v13, v7
	s_and_saveexec_b64 s[0:1], vcc
	s_cbranch_execz .LBB30_353
; %bb.348:
	v_and_b32_e32 v9, 1, v10
	v_cmp_eq_u32_e32 vcc, 1, v9
	s_and_saveexec_b64 s[2:3], vcc
	s_cbranch_execz .LBB30_352
; %bb.349:
	s_waitcnt lgkmcnt(2)
	v_and_b32_e32 v1, 1, v1
	v_cmp_eq_u32_e32 vcc, 1, v1
	s_and_saveexec_b64 s[4:5], vcc
	s_cbranch_execz .LBB30_351
; %bb.350:
	s_waitcnt lgkmcnt(0)
	v_cmp_lt_f32_e32 vcc, v3, v5
	v_cndmask_b32_e32 v3, v3, v5, vcc
	v_cmp_lt_f32_e32 vcc, v4, v2
	v_cndmask_b32_e32 v2, v2, v4, vcc
	v_mov_b32_e32 v10, 1
.LBB30_351:
	s_or_b64 exec, exec, s[4:5]
	v_mov_b32_e32 v1, v10
	s_waitcnt lgkmcnt(0)
	v_pk_mov_b32 v[4:5], v[2:3], v[2:3] op_sel:[0,1]
.LBB30_352:
	s_or_b64 exec, exec, s[2:3]
	s_waitcnt lgkmcnt(2)
	v_and_b32_e32 v9, 0xff, v1
	s_waitcnt lgkmcnt(0)
	v_pk_mov_b32 v[2:3], v[4:5], v[4:5] op_sel:[0,1]
	v_mov_b32_e32 v10, v1
	v_mov_b32_e32 v11, v4
	;; [unrolled: 1-line block ×3, first 2 shown]
.LBB30_353:
	s_or_b64 exec, exec, s[0:1]
	v_cmp_gt_u32_e32 vcc, 56, v8
	s_waitcnt lgkmcnt(2)
	v_cndmask_b32_e64 v1, 0, 1, vcc
	v_lshlrev_b32_e32 v1, 3, v1
	s_waitcnt lgkmcnt(0)
	v_add_lshl_u32 v5, v1, v6, 2
	ds_bpermute_b32 v1, v5, v9
	ds_bpermute_b32 v4, v5, v11
	;; [unrolled: 1-line block ×3, first 2 shown]
	v_add_u32_e32 v13, 8, v8
	v_cmp_lt_u32_e32 vcc, v13, v7
	s_and_saveexec_b64 s[0:1], vcc
	s_cbranch_execz .LBB30_359
; %bb.354:
	v_and_b32_e32 v9, 1, v10
	v_cmp_eq_u32_e32 vcc, 1, v9
	s_and_saveexec_b64 s[2:3], vcc
	s_cbranch_execz .LBB30_358
; %bb.355:
	s_waitcnt lgkmcnt(2)
	v_and_b32_e32 v1, 1, v1
	v_cmp_eq_u32_e32 vcc, 1, v1
	s_and_saveexec_b64 s[4:5], vcc
	s_cbranch_execz .LBB30_357
; %bb.356:
	s_waitcnt lgkmcnt(0)
	v_cmp_gt_f32_e32 vcc, v5, v3
	v_cndmask_b32_e32 v3, v3, v5, vcc
	v_cmp_gt_f32_e32 vcc, v2, v4
	v_cndmask_b32_e32 v2, v2, v4, vcc
	v_mov_b32_e32 v10, 1
.LBB30_357:
	s_or_b64 exec, exec, s[4:5]
	v_mov_b32_e32 v1, v10
	s_waitcnt lgkmcnt(0)
	v_pk_mov_b32 v[4:5], v[2:3], v[2:3] op_sel:[0,1]
.LBB30_358:
	s_or_b64 exec, exec, s[2:3]
	s_waitcnt lgkmcnt(2)
	v_and_b32_e32 v9, 0xff, v1
	s_waitcnt lgkmcnt(0)
	v_pk_mov_b32 v[2:3], v[4:5], v[4:5] op_sel:[0,1]
	v_mov_b32_e32 v10, v1
	v_mov_b32_e32 v11, v4
	;; [unrolled: 1-line block ×3, first 2 shown]
.LBB30_359:
	s_or_b64 exec, exec, s[0:1]
	v_cmp_gt_u32_e32 vcc, 48, v8
	s_waitcnt lgkmcnt(2)
	v_cndmask_b32_e64 v1, 0, 1, vcc
	v_lshlrev_b32_e32 v1, 4, v1
	s_waitcnt lgkmcnt(0)
	v_add_lshl_u32 v5, v1, v6, 2
	ds_bpermute_b32 v1, v5, v9
	ds_bpermute_b32 v4, v5, v11
	ds_bpermute_b32 v5, v5, v12
	v_add_u32_e32 v13, 16, v8
	v_cmp_lt_u32_e32 vcc, v13, v7
	s_and_saveexec_b64 s[0:1], vcc
	s_cbranch_execz .LBB30_365
; %bb.360:
	v_and_b32_e32 v9, 1, v10
	v_cmp_eq_u32_e32 vcc, 1, v9
	s_and_saveexec_b64 s[2:3], vcc
	s_cbranch_execz .LBB30_364
; %bb.361:
	s_waitcnt lgkmcnt(2)
	v_and_b32_e32 v1, 1, v1
	v_cmp_eq_u32_e32 vcc, 1, v1
	s_and_saveexec_b64 s[4:5], vcc
	s_cbranch_execz .LBB30_363
; %bb.362:
	s_waitcnt lgkmcnt(0)
	v_cmp_gt_f32_e32 vcc, v5, v3
	v_cndmask_b32_e32 v3, v3, v5, vcc
	v_cmp_gt_f32_e32 vcc, v2, v4
	v_cndmask_b32_e32 v2, v2, v4, vcc
	v_mov_b32_e32 v10, 1
.LBB30_363:
	s_or_b64 exec, exec, s[4:5]
	v_mov_b32_e32 v1, v10
	s_waitcnt lgkmcnt(0)
	v_pk_mov_b32 v[4:5], v[2:3], v[2:3] op_sel:[0,1]
.LBB30_364:
	s_or_b64 exec, exec, s[2:3]
	s_waitcnt lgkmcnt(2)
	v_and_b32_e32 v9, 0xff, v1
	s_waitcnt lgkmcnt(0)
	v_pk_mov_b32 v[2:3], v[4:5], v[4:5] op_sel:[0,1]
	v_mov_b32_e32 v10, v1
	v_mov_b32_e32 v11, v4
	;; [unrolled: 1-line block ×3, first 2 shown]
.LBB30_365:
	s_or_b64 exec, exec, s[0:1]
	v_cmp_gt_u32_e32 vcc, 32, v8
	s_waitcnt lgkmcnt(2)
	v_cndmask_b32_e64 v1, 0, 1, vcc
	v_lshlrev_b32_e32 v1, 5, v1
	s_waitcnt lgkmcnt(0)
	v_add_lshl_u32 v5, v1, v6, 2
	ds_bpermute_b32 v1, v5, v9
	ds_bpermute_b32 v4, v5, v11
	ds_bpermute_b32 v5, v5, v12
	v_add_u32_e32 v8, 32, v8
	v_cmp_lt_u32_e32 vcc, v8, v7
	s_and_saveexec_b64 s[0:1], vcc
	s_cbranch_execz .LBB30_371
; %bb.366:
	v_and_b32_e32 v7, 1, v10
	v_cmp_eq_u32_e32 vcc, 1, v7
	s_and_saveexec_b64 s[2:3], vcc
	s_cbranch_execz .LBB30_370
; %bb.367:
	s_waitcnt lgkmcnt(2)
	v_and_b32_e32 v1, 1, v1
	v_cmp_eq_u32_e32 vcc, 1, v1
	s_and_saveexec_b64 s[4:5], vcc
	s_cbranch_execz .LBB30_369
; %bb.368:
	s_waitcnt lgkmcnt(0)
	v_cmp_gt_f32_e32 vcc, v5, v3
	v_cndmask_b32_e32 v3, v3, v5, vcc
	v_cmp_gt_f32_e32 vcc, v2, v4
	v_cndmask_b32_e32 v2, v2, v4, vcc
	v_mov_b32_e32 v10, 1
.LBB30_369:
	s_or_b64 exec, exec, s[4:5]
	v_mov_b32_e32 v1, v10
	s_waitcnt lgkmcnt(0)
	v_pk_mov_b32 v[4:5], v[2:3], v[2:3] op_sel:[0,1]
.LBB30_370:
	s_or_b64 exec, exec, s[2:3]
	s_waitcnt lgkmcnt(2)
	v_and_b32_e32 v9, 0xff, v1
	s_waitcnt lgkmcnt(0)
	v_pk_mov_b32 v[2:3], v[4:5], v[4:5] op_sel:[0,1]
	v_mov_b32_e32 v10, v1
.LBB30_371:
	s_or_b64 exec, exec, s[0:1]
	v_cmp_eq_u32_e32 vcc, 0, v6
	s_and_saveexec_b64 s[0:1], vcc
	s_cbranch_execz .LBB30_373
; %bb.372:
	s_waitcnt lgkmcnt(2)
	v_lshrrev_b32_e32 v1, 6, v0
	v_mul_u32_u24_e32 v1, 12, v1
	ds_write_b8 v1, v10
	ds_write2_b32 v1, v2, v3 offset0:1 offset1:2
.LBB30_373:
	s_or_b64 exec, exec, s[0:1]
	v_cmp_gt_u32_e32 vcc, 4, v0
	s_waitcnt lgkmcnt(0)
	s_barrier
	s_and_saveexec_b64 s[0:1], vcc
	s_cbranch_execz .LBB30_387
; %bb.374:
	v_mul_u32_u24_e32 v2, 12, v6
	ds_read_u8 v1, v2
	ds_read2_b32 v[2:3], v2 offset0:1 offset1:2
	v_and_b32_e32 v7, 3, v6
	v_cmp_ne_u32_e32 vcc, 3, v7
	v_addc_co_u32_e32 v4, vcc, 0, v6, vcc
	s_waitcnt lgkmcnt(1)
	v_and_b32_e32 v9, 0xff, v1
	v_lshlrev_b32_e32 v5, 2, v4
	ds_bpermute_b32 v8, v5, v9
	s_waitcnt lgkmcnt(1)
	ds_bpermute_b32 v4, v5, v2
	ds_bpermute_b32 v5, v5, v3
	s_add_i32 s8, s8, 63
	s_lshr_b32 s10, s8, 6
	v_add_u32_e32 v10, 1, v7
	v_cmp_gt_u32_e32 vcc, s10, v10
	v_mov_b32_e32 v10, v2
	v_mov_b32_e32 v11, v3
	s_and_saveexec_b64 s[2:3], vcc
	s_cbranch_execz .LBB30_380
; %bb.375:
	v_and_b32_e32 v9, 1, v1
	v_cmp_eq_u32_e32 vcc, 1, v9
	s_and_saveexec_b64 s[4:5], vcc
	s_cbranch_execz .LBB30_379
; %bb.376:
	s_waitcnt lgkmcnt(2)
	v_and_b32_e32 v8, 1, v8
	v_cmp_eq_u32_e32 vcc, 1, v8
	s_and_saveexec_b64 s[8:9], vcc
	s_cbranch_execz .LBB30_378
; %bb.377:
	s_waitcnt lgkmcnt(0)
	v_cmp_gt_f32_e32 vcc, v5, v3
	v_cndmask_b32_e32 v3, v3, v5, vcc
	v_cmp_gt_f32_e32 vcc, v2, v4
	v_cndmask_b32_e32 v2, v2, v4, vcc
	v_mov_b32_e32 v1, 1
.LBB30_378:
	s_or_b64 exec, exec, s[8:9]
	v_mov_b32_e32 v8, v1
	s_waitcnt lgkmcnt(0)
	v_pk_mov_b32 v[4:5], v[2:3], v[2:3] op_sel:[0,1]
.LBB30_379:
	s_or_b64 exec, exec, s[4:5]
	s_waitcnt lgkmcnt(2)
	v_and_b32_e32 v9, 0xff, v8
	s_waitcnt lgkmcnt(0)
	v_pk_mov_b32 v[2:3], v[4:5], v[4:5] op_sel:[0,1]
	v_mov_b32_e32 v1, v8
	v_mov_b32_e32 v10, v4
	;; [unrolled: 1-line block ×3, first 2 shown]
.LBB30_380:
	s_or_b64 exec, exec, s[2:3]
	v_cmp_gt_u32_e32 vcc, 2, v7
	s_waitcnt lgkmcnt(1)
	v_cndmask_b32_e64 v4, 0, 1, vcc
	v_lshlrev_b32_e32 v4, 1, v4
	s_waitcnt lgkmcnt(0)
	v_add_lshl_u32 v5, v4, v6, 2
	ds_bpermute_b32 v6, v5, v9
	ds_bpermute_b32 v4, v5, v10
	;; [unrolled: 1-line block ×3, first 2 shown]
	v_add_u32_e32 v7, 2, v7
	v_cmp_gt_u32_e32 vcc, s10, v7
	s_and_saveexec_b64 s[2:3], vcc
	s_cbranch_execz .LBB30_386
; %bb.381:
	v_and_b32_e32 v7, 1, v1
	v_cmp_eq_u32_e32 vcc, 1, v7
	s_and_saveexec_b64 s[4:5], vcc
	s_cbranch_execz .LBB30_385
; %bb.382:
	s_waitcnt lgkmcnt(2)
	v_and_b32_e32 v6, 1, v6
	v_cmp_eq_u32_e32 vcc, 1, v6
	s_and_saveexec_b64 s[8:9], vcc
	s_cbranch_execz .LBB30_384
; %bb.383:
	s_waitcnt lgkmcnt(0)
	v_cmp_gt_f32_e32 vcc, v5, v3
	v_cndmask_b32_e32 v3, v3, v5, vcc
	v_cmp_gt_f32_e32 vcc, v2, v4
	v_cndmask_b32_e32 v2, v2, v4, vcc
	v_mov_b32_e32 v1, 1
.LBB30_384:
	s_or_b64 exec, exec, s[8:9]
	v_mov_b32_e32 v6, v1
	s_waitcnt lgkmcnt(0)
	v_pk_mov_b32 v[4:5], v[2:3], v[2:3] op_sel:[0,1]
.LBB30_385:
	s_or_b64 exec, exec, s[4:5]
	s_waitcnt lgkmcnt(2)
	v_and_b32_e32 v9, 0xff, v6
	s_waitcnt lgkmcnt(0)
	v_pk_mov_b32 v[2:3], v[4:5], v[4:5] op_sel:[0,1]
.LBB30_386:
	s_or_b64 exec, exec, s[2:3]
.LBB30_387:
	s_or_b64 exec, exec, s[0:1]
.LBB30_388:
	v_cmp_eq_u32_e32 vcc, 0, v0
                                        ; implicit-def: $vgpr4_vgpr5
                                        ; implicit-def: $vgpr1
	s_and_saveexec_b64 s[0:1], vcc
	s_xor_b64 s[4:5], exec, s[0:1]
	s_cbranch_execz .LBB30_394
; %bb.389:
	s_cmp_eq_u64 s[40:41], 0
	s_waitcnt lgkmcnt(0)
	v_pk_mov_b32 v[4:5], s[44:45], s[44:45] op_sel:[0,1]
	v_mov_b32_e32 v1, s33
	s_cbranch_scc1 .LBB30_393
; %bb.390:
	s_bitcmp0_b32 s33, 0
	s_cbranch_scc1 .LBB30_392
; %bb.391:
	v_and_b32_e32 v1, 1, v9
	v_cmp_lt_f32_e32 vcc, s45, v3
	v_cmp_eq_u32_e64 s[2:3], 1, v1
	v_cmp_gt_f32_e64 s[0:1], s44, v2
	v_mov_b32_e32 v1, s45
	s_and_b64 vcc, s[2:3], vcc
	v_mov_b32_e32 v4, s33
	v_cndmask_b32_e32 v3, v1, v3, vcc
	v_mov_b32_e32 v1, s44
	s_and_b64 vcc, s[2:3], s[0:1]
	v_cndmask_b32_e64 v9, v4, 1, s[2:3]
	v_cndmask_b32_e32 v2, v1, v2, vcc
.LBB30_392:
	v_pk_mov_b32 v[4:5], v[2:3], v[2:3] op_sel:[0,1]
	v_mov_b32_e32 v1, v9
.LBB30_393:
	s_or_b64 s[18:19], s[18:19], exec
.LBB30_394:
	s_or_b64 exec, exec, s[4:5]
	s_branch .LBB30_437
.LBB30_395:
	s_cmp_eq_u32 s46, 4
	s_cbranch_scc0 .LBB30_436
; %bb.396:
	s_mov_b32 s7, 0
	s_lshl_b32 s12, s6, 10
	s_mov_b32 s13, s7
	s_lshr_b64 s[0:1], s[40:41], 10
	s_add_i32 s14, s47, s12
	s_lshl_b64 s[2:3], s[12:13], 2
	s_add_u32 s10, s36, s2
	s_addc_u32 s11, s37, s3
	s_cmp_lg_u64 s[0:1], s[6:7]
	s_cbranch_scc0 .LBB30_438
; %bb.397:
	v_lshlrev_b32_e32 v8, 2, v0
	global_load_dword v1, v8, s[10:11] offset:1024
	global_load_dword v7, v8, s[10:11] offset:2048
	s_waitcnt lgkmcnt(2)
	global_load_dword v6, v8, s[10:11] offset:3072
	s_abs_i32 s8, s39
	s_waitcnt lgkmcnt(1)
	v_cvt_f32_u32_e32 v2, s8
	s_sub_i32 s0, 0, s8
	s_waitcnt lgkmcnt(0)
	v_add_u32_e32 v3, s14, v0
	v_sub_u32_e32 v5, 0, v3
	v_rcp_iflag_f32_e32 v2, v2
	v_max_i32_e32 v5, v3, v5
	v_ashrrev_i32_e32 v4, 31, v3
	v_mul_f32_e32 v2, 0x4f7ffffe, v2
	v_cvt_u32_f32_e32 v2, v2
	v_mul_lo_u32 v9, s0, v2
	v_mul_hi_u32 v9, v2, v9
	v_add_u32_e32 v2, v2, v9
	v_mul_hi_u32 v9, v5, v2
	v_mul_lo_u32 v9, v9, s8
	v_sub_u32_e32 v5, v5, v9
	v_subrev_u32_e32 v9, s8, v5
	v_cmp_le_u32_e32 vcc, s8, v5
	v_cndmask_b32_e32 v5, v5, v9, vcc
	v_subrev_u32_e32 v9, s8, v5
	v_cmp_le_u32_e32 vcc, s8, v5
	v_cndmask_b32_e32 v5, v5, v9, vcc
	v_xor_b32_e32 v5, v5, v4
	v_sub_u32_e32 v4, v5, v4
	v_cmp_gt_i32_e64 s[0:1], s38, v4
	v_add_u32_e32 v4, 0x100, v3
	v_sub_u32_e32 v9, 0, v4
	v_ashrrev_i32_e32 v5, 31, v4
	v_max_i32_e32 v4, v4, v9
	v_mul_hi_u32 v9, v4, v2
	v_mul_lo_u32 v9, v9, s8
	v_sub_u32_e32 v4, v4, v9
	v_subrev_u32_e32 v9, s8, v4
	v_cmp_le_u32_e32 vcc, s8, v4
	v_cndmask_b32_e32 v4, v4, v9, vcc
	v_subrev_u32_e32 v9, s8, v4
	v_cmp_le_u32_e32 vcc, s8, v4
	v_cndmask_b32_e32 v4, v4, v9, vcc
	v_xor_b32_e32 v4, v4, v5
	v_sub_u32_e32 v4, v4, v5
	v_cmp_gt_i32_e32 vcc, s38, v4
	v_add_u32_e32 v4, 0x200, v3
	v_sub_u32_e32 v5, 0, v4
	v_add_u32_e32 v3, 0x300, v3
	v_max_i32_e32 v12, v4, v5
	v_sub_u32_e32 v11, 0, v3
	v_ashrrev_i32_e32 v10, 31, v4
	v_mad_u64_u32 v[4:5], s[2:3], v12, v2, 0
	v_max_i32_e32 v11, v3, v11
	v_ashrrev_i32_e32 v4, 31, v3
	v_mad_u64_u32 v[2:3], s[2:3], v11, v2, 0
	v_cndmask_b32_e64 v9, 0, 1, vcc
	s_waitcnt vmcnt(2)
	v_mov_b32_e32 v2, v1
	s_and_saveexec_b64 s[4:5], s[0:1]
	s_cbranch_execz .LBB30_399
; %bb.398:
	v_mov_b32_e32 v2, s11
	v_add_co_u32_e64 v8, s[0:1], s10, v8
	v_addc_co_u32_e64 v9, s[0:1], 0, v2, s[0:1]
	global_load_dword v2, v[8:9], off
	v_mov_b32_e32 v9, 1
	s_waitcnt vmcnt(0)
	v_cmp_lt_f32_e64 s[0:1], v1, v2
	v_cmp_lt_f32_e64 s[2:3], v2, v1
	s_and_b64 s[0:1], vcc, s[0:1]
	v_cndmask_b32_e64 v8, v2, v1, s[0:1]
	s_and_b64 vcc, vcc, s[2:3]
	v_cndmask_b32_e32 v2, v2, v1, vcc
	v_mov_b32_e32 v1, v8
.LBB30_399:
	s_or_b64 exec, exec, s[4:5]
	v_mul_lo_u32 v5, v5, s8
	v_sub_u32_e32 v5, v12, v5
	v_subrev_u32_e32 v8, s8, v5
	v_cmp_le_u32_e32 vcc, s8, v5
	v_cndmask_b32_e32 v5, v5, v8, vcc
	v_mul_lo_u32 v3, v3, s8
	v_subrev_u32_e32 v8, s8, v5
	v_cmp_le_u32_e32 vcc, s8, v5
	v_sub_u32_e32 v3, v11, v3
	v_cndmask_b32_e32 v5, v5, v8, vcc
	v_subrev_u32_e32 v8, s8, v3
	v_cmp_le_u32_e64 s[0:1], s8, v3
	v_cndmask_b32_e64 v3, v3, v8, s[0:1]
	v_xor_b32_e32 v5, v5, v10
	v_subrev_u32_e32 v8, s8, v3
	v_cmp_le_u32_e64 s[0:1], s8, v3
	v_sub_u32_e32 v5, v5, v10
	v_cndmask_b32_e64 v3, v3, v8, s[0:1]
	v_cmp_gt_i32_e32 vcc, s38, v5
	v_xor_b32_e32 v3, v3, v4
	s_waitcnt vmcnt(1)
	v_cmp_lt_f32_e64 s[4:5], v7, v1
	v_sub_u32_e32 v3, v3, v4
	v_and_b32_e32 v4, 1, v9
	v_cmp_lt_f32_e64 s[2:3], v2, v7
	s_and_b64 s[4:5], vcc, s[4:5]
	v_cndmask_b32_e64 v5, 0, 1, vcc
	v_cndmask_b32_e64 v8, v9, 1, vcc
	v_cmp_eq_u32_e64 s[8:9], 1, v4
	v_cndmask_b32_e64 v1, v1, v7, s[4:5]
	s_and_b64 vcc, vcc, s[2:3]
	v_cndmask_b32_e64 v4, v5, v8, s[8:9]
	v_cndmask_b32_e64 v5, v7, v1, s[8:9]
	v_cndmask_b32_e32 v1, v2, v7, vcc
	v_cndmask_b32_e64 v2, v7, v1, s[8:9]
	v_cmp_gt_i32_e64 s[0:1], s38, v3
	v_and_b32_e32 v1, 1, v4
	s_waitcnt vmcnt(0)
	v_cmp_lt_f32_e32 vcc, v2, v6
	v_cmp_lt_f32_e64 s[2:3], v6, v5
	v_cndmask_b32_e64 v3, 0, 1, s[0:1]
	v_cndmask_b32_e64 v4, v4, 1, s[0:1]
	v_cmp_eq_u32_e64 s[4:5], 1, v1
	s_and_b64 s[2:3], s[0:1], s[2:3]
	s_and_b64 vcc, s[0:1], vcc
	v_cndmask_b32_e64 v1, v3, v4, s[4:5]
	v_cndmask_b32_e64 v4, v5, v6, s[2:3]
	v_cndmask_b32_e32 v2, v2, v6, vcc
	v_cndmask_b32_e64 v3, v6, v2, s[4:5]
	v_cndmask_b32_e64 v2, v6, v4, s[4:5]
	v_and_b32_e32 v4, 0xffff, v1
	v_mov_b32_dpp v5, v3 quad_perm:[1,0,3,2] row_mask:0xf bank_mask:0xf bound_ctrl:1
	s_nop 0
	v_mov_b32_dpp v6, v4 quad_perm:[1,0,3,2] row_mask:0xf bank_mask:0xf bound_ctrl:1
	v_and_b32_e32 v7, 1, v6
	v_mov_b32_dpp v4, v2 quad_perm:[1,0,3,2] row_mask:0xf bank_mask:0xf bound_ctrl:1
	v_cmp_eq_u32_e32 vcc, 1, v7
	s_and_saveexec_b64 s[0:1], vcc
	s_xor_b64 s[0:1], exec, s[0:1]
	s_cbranch_execz .LBB30_403
; %bb.400:
	v_and_b32_e32 v1, 1, v1
	v_cmp_eq_u32_e32 vcc, 1, v1
	s_and_saveexec_b64 s[2:3], vcc
; %bb.401:
	v_cmp_gt_f32_e32 vcc, v3, v5
	v_cndmask_b32_e32 v5, v5, v3, vcc
	v_cmp_lt_f32_e32 vcc, v2, v4
	v_cndmask_b32_e32 v4, v4, v2, vcc
	v_mov_b32_e32 v6, 1
; %bb.402:
	s_or_b64 exec, exec, s[2:3]
	v_mov_b32_e32 v1, v6
	v_pk_mov_b32 v[2:3], v[4:5], v[4:5] op_sel:[0,1]
.LBB30_403:
	s_or_b64 exec, exec, s[0:1]
	v_and_b32_e32 v4, 0xff, v1
	v_mov_b32_dpp v5, v3 quad_perm:[2,3,0,1] row_mask:0xf bank_mask:0xf bound_ctrl:1
	s_nop 0
	v_mov_b32_dpp v6, v4 quad_perm:[2,3,0,1] row_mask:0xf bank_mask:0xf bound_ctrl:1
	v_and_b32_e32 v7, 1, v6
	v_mov_b32_dpp v4, v2 quad_perm:[2,3,0,1] row_mask:0xf bank_mask:0xf bound_ctrl:1
	v_cmp_eq_u32_e32 vcc, 1, v7
	s_and_saveexec_b64 s[0:1], vcc
	s_cbranch_execz .LBB30_407
; %bb.404:
	v_and_b32_e32 v1, 1, v1
	v_cmp_eq_u32_e32 vcc, 1, v1
	s_and_saveexec_b64 s[2:3], vcc
; %bb.405:
	v_cmp_lt_f32_e32 vcc, v5, v3
	v_cndmask_b32_e32 v5, v5, v3, vcc
	v_cmp_lt_f32_e32 vcc, v2, v4
	v_cndmask_b32_e32 v4, v4, v2, vcc
	v_mov_b32_e32 v6, 1
; %bb.406:
	s_or_b64 exec, exec, s[2:3]
	v_mov_b32_e32 v1, v6
	v_pk_mov_b32 v[2:3], v[4:5], v[4:5] op_sel:[0,1]
.LBB30_407:
	s_or_b64 exec, exec, s[0:1]
	v_and_b32_e32 v4, 0xff, v1
	v_mov_b32_dpp v5, v3 row_ror:4 row_mask:0xf bank_mask:0xf bound_ctrl:1
	s_nop 0
	v_mov_b32_dpp v6, v4 row_ror:4 row_mask:0xf bank_mask:0xf bound_ctrl:1
	v_and_b32_e32 v7, 1, v6
	v_mov_b32_dpp v4, v2 row_ror:4 row_mask:0xf bank_mask:0xf bound_ctrl:1
	v_cmp_eq_u32_e32 vcc, 1, v7
	s_and_saveexec_b64 s[0:1], vcc
	s_cbranch_execz .LBB30_411
; %bb.408:
	v_and_b32_e32 v1, 1, v1
	v_cmp_eq_u32_e32 vcc, 1, v1
	s_and_saveexec_b64 s[2:3], vcc
; %bb.409:
	v_cmp_lt_f32_e32 vcc, v5, v3
	v_cndmask_b32_e32 v5, v5, v3, vcc
	v_cmp_lt_f32_e32 vcc, v2, v4
	v_cndmask_b32_e32 v4, v4, v2, vcc
	v_mov_b32_e32 v6, 1
; %bb.410:
	s_or_b64 exec, exec, s[2:3]
	v_mov_b32_e32 v1, v6
	v_pk_mov_b32 v[2:3], v[4:5], v[4:5] op_sel:[0,1]
.LBB30_411:
	s_or_b64 exec, exec, s[0:1]
	v_and_b32_e32 v4, 0xff, v1
	v_mov_b32_dpp v5, v3 row_ror:8 row_mask:0xf bank_mask:0xf bound_ctrl:1
	s_nop 0
	v_mov_b32_dpp v6, v4 row_ror:8 row_mask:0xf bank_mask:0xf bound_ctrl:1
	v_and_b32_e32 v7, 1, v6
	v_mov_b32_dpp v4, v2 row_ror:8 row_mask:0xf bank_mask:0xf bound_ctrl:1
	v_cmp_eq_u32_e32 vcc, 1, v7
	s_and_saveexec_b64 s[0:1], vcc
	s_cbranch_execz .LBB30_415
; %bb.412:
	v_and_b32_e32 v1, 1, v1
	v_cmp_eq_u32_e32 vcc, 1, v1
	s_and_saveexec_b64 s[2:3], vcc
; %bb.413:
	v_cmp_lt_f32_e32 vcc, v5, v3
	v_cndmask_b32_e32 v5, v5, v3, vcc
	v_cmp_lt_f32_e32 vcc, v2, v4
	v_cndmask_b32_e32 v4, v4, v2, vcc
	v_mov_b32_e32 v6, 1
; %bb.414:
	s_or_b64 exec, exec, s[2:3]
	v_mov_b32_e32 v1, v6
	v_pk_mov_b32 v[2:3], v[4:5], v[4:5] op_sel:[0,1]
.LBB30_415:
	s_or_b64 exec, exec, s[0:1]
	v_and_b32_e32 v4, 0xff, v1
	v_mov_b32_dpp v5, v3 row_bcast:15 row_mask:0xf bank_mask:0xf bound_ctrl:1
	s_nop 0
	v_mov_b32_dpp v6, v4 row_bcast:15 row_mask:0xf bank_mask:0xf bound_ctrl:1
	v_and_b32_e32 v7, 1, v6
	v_mov_b32_dpp v4, v2 row_bcast:15 row_mask:0xf bank_mask:0xf bound_ctrl:1
	v_cmp_eq_u32_e32 vcc, 1, v7
	s_and_saveexec_b64 s[0:1], vcc
	s_cbranch_execz .LBB30_419
; %bb.416:
	v_and_b32_e32 v1, 1, v1
	v_cmp_eq_u32_e32 vcc, 1, v1
	s_and_saveexec_b64 s[2:3], vcc
; %bb.417:
	v_cmp_lt_f32_e32 vcc, v5, v3
	v_cndmask_b32_e32 v5, v5, v3, vcc
	v_cmp_lt_f32_e32 vcc, v2, v4
	v_cndmask_b32_e32 v4, v4, v2, vcc
	v_mov_b32_e32 v6, 1
; %bb.418:
	s_or_b64 exec, exec, s[2:3]
	v_mov_b32_e32 v1, v6
	v_pk_mov_b32 v[2:3], v[4:5], v[4:5] op_sel:[0,1]
.LBB30_419:
	s_or_b64 exec, exec, s[0:1]
	v_and_b32_e32 v4, 0xff, v1
	v_mov_b32_dpp v5, v3 row_bcast:31 row_mask:0xf bank_mask:0xf bound_ctrl:1
	s_nop 0
	v_mov_b32_dpp v6, v4 row_bcast:31 row_mask:0xf bank_mask:0xf bound_ctrl:1
	v_and_b32_e32 v7, 1, v6
	v_mov_b32_dpp v4, v2 row_bcast:31 row_mask:0xf bank_mask:0xf bound_ctrl:1
	v_cmp_eq_u32_e32 vcc, 1, v7
	s_and_saveexec_b64 s[0:1], vcc
	s_cbranch_execz .LBB30_423
; %bb.420:
	v_and_b32_e32 v1, 1, v1
	v_cmp_eq_u32_e32 vcc, 1, v1
	s_and_saveexec_b64 s[2:3], vcc
; %bb.421:
	v_cmp_lt_f32_e32 vcc, v5, v3
	v_cndmask_b32_e32 v5, v5, v3, vcc
	v_cmp_lt_f32_e32 vcc, v2, v4
	v_cndmask_b32_e32 v4, v4, v2, vcc
	v_mov_b32_e32 v6, 1
; %bb.422:
	s_or_b64 exec, exec, s[2:3]
	v_mov_b32_e32 v1, v6
	v_pk_mov_b32 v[2:3], v[4:5], v[4:5] op_sel:[0,1]
.LBB30_423:
	s_or_b64 exec, exec, s[0:1]
	v_mbcnt_lo_u32_b32 v4, -1, 0
	v_mbcnt_hi_u32_b32 v6, -1, v4
	v_bfrev_b32_e32 v4, 0.5
	v_and_b32_e32 v1, 0xff, v1
	v_lshl_or_b32 v4, v6, 2, v4
	ds_bpermute_b32 v8, v4, v1
	ds_bpermute_b32 v2, v4, v2
	;; [unrolled: 1-line block ×3, first 2 shown]
	v_cmp_eq_u32_e32 vcc, 0, v6
	s_and_saveexec_b64 s[0:1], vcc
	s_cbranch_execz .LBB30_425
; %bb.424:
	v_lshrrev_b32_e32 v1, 6, v0
	v_mul_u32_u24_e32 v1, 12, v1
	s_waitcnt lgkmcnt(2)
	ds_write_b8 v1, v8 offset:192
	s_waitcnt lgkmcnt(1)
	ds_write2_b32 v1, v2, v3 offset0:49 offset1:50
.LBB30_425:
	s_or_b64 exec, exec, s[0:1]
	v_cmp_gt_u32_e32 vcc, 64, v0
	s_waitcnt lgkmcnt(0)
	s_barrier
	s_and_saveexec_b64 s[0:1], vcc
	s_cbranch_execz .LBB30_435
; %bb.426:
	v_and_b32_e32 v7, 3, v6
	v_mul_u32_u24_e32 v1, 12, v7
	ds_read_u8 v8, v1 offset:192
	ds_read2_b32 v[2:3], v1 offset0:49 offset1:50
	v_cmp_ne_u32_e32 vcc, 3, v7
	v_addc_co_u32_e32 v1, vcc, 0, v6, vcc
	s_waitcnt lgkmcnt(1)
	v_and_b32_e32 v4, 0xff, v8
	v_lshlrev_b32_e32 v5, 2, v1
	ds_bpermute_b32 v1, v5, v4
	s_waitcnt lgkmcnt(1)
	ds_bpermute_b32 v4, v5, v2
	ds_bpermute_b32 v5, v5, v3
	v_and_b32_e32 v9, 1, v8
	v_cmp_eq_u32_e32 vcc, 1, v9
	s_and_saveexec_b64 s[2:3], vcc
	s_cbranch_execz .LBB30_430
; %bb.427:
	s_waitcnt lgkmcnt(2)
	v_and_b32_e32 v1, 1, v1
	v_cmp_eq_u32_e32 vcc, 1, v1
	s_and_saveexec_b64 s[4:5], vcc
	s_cbranch_execz .LBB30_429
; %bb.428:
	s_waitcnt lgkmcnt(0)
	v_cmp_gt_f32_e32 vcc, v5, v3
	v_cndmask_b32_e32 v3, v3, v5, vcc
	v_cmp_gt_f32_e32 vcc, v2, v4
	v_cndmask_b32_e32 v2, v2, v4, vcc
	v_mov_b32_e32 v8, 1
.LBB30_429:
	s_or_b64 exec, exec, s[4:5]
	v_mov_b32_e32 v1, v8
	s_waitcnt lgkmcnt(0)
	v_pk_mov_b32 v[4:5], v[2:3], v[2:3] op_sel:[0,1]
.LBB30_430:
	s_or_b64 exec, exec, s[2:3]
	v_cmp_gt_u32_e32 vcc, 2, v7
	v_cndmask_b32_e64 v3, 0, 1, vcc
	v_lshlrev_b32_e32 v3, 1, v3
	s_waitcnt lgkmcnt(2)
	v_and_b32_e32 v2, 0xff, v1
	v_add_lshl_u32 v3, v3, v6, 2
	ds_bpermute_b32 v6, v3, v2
	s_waitcnt lgkmcnt(2)
	ds_bpermute_b32 v2, v3, v4
	s_waitcnt lgkmcnt(2)
	ds_bpermute_b32 v3, v3, v5
	v_and_b32_e32 v7, 1, v1
	v_cmp_eq_u32_e32 vcc, 1, v7
	s_and_saveexec_b64 s[2:3], vcc
	s_cbranch_execz .LBB30_434
; %bb.431:
	s_waitcnt lgkmcnt(2)
	v_and_b32_e32 v6, 1, v6
	v_cmp_eq_u32_e32 vcc, 1, v6
	s_and_saveexec_b64 s[4:5], vcc
	s_cbranch_execz .LBB30_433
; %bb.432:
	s_waitcnt lgkmcnt(0)
	v_cmp_gt_f32_e32 vcc, v3, v5
	v_cndmask_b32_e32 v5, v5, v3, vcc
	v_cmp_gt_f32_e32 vcc, v4, v2
	v_cndmask_b32_e32 v4, v4, v2, vcc
	v_mov_b32_e32 v1, 1
.LBB30_433:
	s_or_b64 exec, exec, s[4:5]
	v_mov_b32_e32 v6, v1
	s_waitcnt lgkmcnt(0)
	v_pk_mov_b32 v[2:3], v[4:5], v[4:5] op_sel:[0,1]
.LBB30_434:
	s_or_b64 exec, exec, s[2:3]
	s_waitcnt lgkmcnt(2)
	v_and_b32_e32 v8, 0xff, v6
.LBB30_435:
	s_or_b64 exec, exec, s[0:1]
	s_branch .LBB30_518
.LBB30_436:
                                        ; implicit-def: $vgpr4_vgpr5
                                        ; implicit-def: $vgpr1
.LBB30_437:
	s_branch .LBB30_680
.LBB30_438:
                                        ; implicit-def: $vgpr2_vgpr3
                                        ; implicit-def: $vgpr8
	s_cbranch_execz .LBB30_518
; %bb.439:
	s_sub_i32 s12, s40, s12
	v_cmp_gt_u32_e32 vcc, s12, v0
	s_waitcnt lgkmcnt(1)
	v_mov_b32_e32 v2, 0
	v_mov_b32_e32 v1, 0
	v_mov_b32_e32 v10, 0
	s_and_saveexec_b64 s[0:1], vcc
	s_cbranch_execz .LBB30_441
; %bb.440:
	v_lshlrev_b32_e32 v2, 2, v0
	global_load_dword v2, v2, s[10:11]
	s_abs_i32 s2, s39
	s_waitcnt lgkmcnt(0)
	v_cvt_f32_u32_e32 v3, s2
	v_add_u32_e32 v4, s14, v0
	v_sub_u32_e32 v6, 0, v4
	s_sub_i32 s3, 0, s2
	v_rcp_iflag_f32_e32 v3, v3
	v_ashrrev_i32_e32 v5, 31, v4
	v_max_i32_e32 v4, v4, v6
	v_mul_f32_e32 v3, 0x4f7ffffe, v3
	v_cvt_u32_f32_e32 v3, v3
	v_mul_lo_u32 v6, s3, v3
	v_mul_hi_u32 v6, v3, v6
	v_add_u32_e32 v3, v3, v6
	v_mul_hi_u32 v3, v4, v3
	v_mul_lo_u32 v3, v3, s2
	v_sub_u32_e32 v3, v4, v3
	v_subrev_u32_e32 v4, s2, v3
	v_cmp_le_u32_e32 vcc, s2, v3
	v_cndmask_b32_e32 v3, v3, v4, vcc
	v_subrev_u32_e32 v4, s2, v3
	v_cmp_le_u32_e32 vcc, s2, v3
	v_cndmask_b32_e32 v3, v3, v4, vcc
	v_xor_b32_e32 v3, v3, v5
	v_sub_u32_e32 v3, v3, v5
	v_cmp_gt_i32_e32 vcc, s38, v3
	v_cndmask_b32_e64 v10, 0, 1, vcc
.LBB30_441:
	s_or_b64 exec, exec, s[0:1]
	s_waitcnt lgkmcnt(0)
	v_or_b32_e32 v3, 0x100, v0
	v_cmp_gt_u32_e64 s[2:3], s12, v3
	v_mov_b32_e32 v8, 0
	s_and_saveexec_b64 s[0:1], s[2:3]
	s_cbranch_execz .LBB30_443
; %bb.442:
	v_lshlrev_b32_e32 v1, 2, v0
	global_load_dword v1, v1, s[10:11] offset:1024
	s_abs_i32 s4, s39
	v_cvt_f32_u32_e32 v4, s4
	v_add_u32_e32 v3, s14, v3
	v_sub_u32_e32 v6, 0, v3
	s_sub_i32 s5, 0, s4
	v_rcp_iflag_f32_e32 v4, v4
	v_ashrrev_i32_e32 v5, 31, v3
	v_max_i32_e32 v3, v3, v6
	v_mul_f32_e32 v4, 0x4f7ffffe, v4
	v_cvt_u32_f32_e32 v4, v4
	v_mul_lo_u32 v6, s5, v4
	v_mul_hi_u32 v6, v4, v6
	v_add_u32_e32 v4, v4, v6
	v_mul_hi_u32 v4, v3, v4
	v_mul_lo_u32 v4, v4, s4
	v_sub_u32_e32 v3, v3, v4
	v_subrev_u32_e32 v4, s4, v3
	v_cmp_le_u32_e32 vcc, s4, v3
	v_cndmask_b32_e32 v3, v3, v4, vcc
	v_subrev_u32_e32 v4, s4, v3
	v_cmp_le_u32_e32 vcc, s4, v3
	v_cndmask_b32_e32 v3, v3, v4, vcc
	v_xor_b32_e32 v3, v3, v5
	v_sub_u32_e32 v3, v3, v5
	v_cmp_gt_i32_e32 vcc, s38, v3
	v_cndmask_b32_e64 v8, 0, 1, vcc
.LBB30_443:
	s_or_b64 exec, exec, s[0:1]
	v_or_b32_e32 v3, 0x200, v0
	v_cmp_gt_u32_e64 s[0:1], s12, v3
	v_mov_b32_e32 v5, 0
	v_mov_b32_e32 v6, 0
	;; [unrolled: 1-line block ×3, first 2 shown]
	s_and_saveexec_b64 s[4:5], s[0:1]
	s_cbranch_execz .LBB30_445
; %bb.444:
	v_lshlrev_b32_e32 v4, 2, v0
	global_load_dword v5, v4, s[10:11] offset:2048
	s_abs_i32 s8, s39
	v_cvt_f32_u32_e32 v4, s8
	v_add_u32_e32 v3, s14, v3
	v_sub_u32_e32 v9, 0, v3
	s_sub_i32 s9, 0, s8
	v_rcp_iflag_f32_e32 v4, v4
	v_ashrrev_i32_e32 v7, 31, v3
	v_max_i32_e32 v3, v3, v9
	v_mul_f32_e32 v4, 0x4f7ffffe, v4
	v_cvt_u32_f32_e32 v4, v4
	v_mul_lo_u32 v9, s9, v4
	v_mul_hi_u32 v9, v4, v9
	v_add_u32_e32 v4, v4, v9
	v_mul_hi_u32 v4, v3, v4
	v_mul_lo_u32 v4, v4, s8
	v_sub_u32_e32 v3, v3, v4
	v_subrev_u32_e32 v4, s8, v3
	v_cmp_le_u32_e32 vcc, s8, v3
	v_cndmask_b32_e32 v3, v3, v4, vcc
	v_subrev_u32_e32 v4, s8, v3
	v_cmp_le_u32_e32 vcc, s8, v3
	v_cndmask_b32_e32 v3, v3, v4, vcc
	v_xor_b32_e32 v3, v3, v7
	v_sub_u32_e32 v3, v3, v7
	v_cmp_gt_i32_e32 vcc, s38, v3
	v_cndmask_b32_e64 v7, 0, 1, vcc
.LBB30_445:
	s_or_b64 exec, exec, s[4:5]
	v_or_b32_e32 v3, 0x300, v0
	v_cmp_gt_u32_e32 vcc, s12, v3
	v_mov_b32_e32 v4, 0
	s_and_saveexec_b64 s[8:9], vcc
	s_cbranch_execnz .LBB30_449
; %bb.446:
	s_or_b64 exec, exec, s[8:9]
	s_waitcnt vmcnt(0)
	v_mov_b32_e32 v3, v2
	s_and_saveexec_b64 s[4:5], s[2:3]
	s_cbranch_execnz .LBB30_450
.LBB30_447:
	s_or_b64 exec, exec, s[4:5]
	s_and_saveexec_b64 s[2:3], s[0:1]
	s_cbranch_execnz .LBB30_455
.LBB30_448:
	s_or_b64 exec, exec, s[2:3]
	s_and_saveexec_b64 s[0:1], vcc
	s_cbranch_execnz .LBB30_460
	s_branch .LBB30_465
.LBB30_449:
	v_lshlrev_b32_e32 v4, 2, v0
	global_load_dword v4, v4, s[10:11] offset:3072
	s_abs_i32 s10, s39
	v_cvt_f32_u32_e32 v6, s10
	v_add_u32_e32 v3, s14, v3
	v_sub_u32_e32 v11, 0, v3
	s_sub_i32 s4, 0, s10
	v_rcp_iflag_f32_e32 v6, v6
	v_ashrrev_i32_e32 v9, 31, v3
	v_max_i32_e32 v3, v3, v11
	v_mul_f32_e32 v6, 0x4f7ffffe, v6
	v_cvt_u32_f32_e32 v6, v6
	v_mul_lo_u32 v11, s4, v6
	v_mul_hi_u32 v11, v6, v11
	v_add_u32_e32 v6, v6, v11
	v_mul_hi_u32 v6, v3, v6
	v_mul_lo_u32 v6, v6, s10
	v_sub_u32_e32 v3, v3, v6
	v_subrev_u32_e32 v6, s10, v3
	v_cmp_le_u32_e64 s[4:5], s10, v3
	v_cndmask_b32_e64 v3, v3, v6, s[4:5]
	v_subrev_u32_e32 v6, s10, v3
	v_cmp_le_u32_e64 s[4:5], s10, v3
	v_cndmask_b32_e64 v3, v3, v6, s[4:5]
	v_xor_b32_e32 v3, v3, v9
	v_sub_u32_e32 v3, v3, v9
	v_cmp_gt_i32_e64 s[4:5], s38, v3
	v_cndmask_b32_e64 v6, 0, 1, s[4:5]
	s_or_b64 exec, exec, s[8:9]
	s_waitcnt vmcnt(1)
	v_mov_b32_e32 v3, v2
	s_and_saveexec_b64 s[4:5], s[2:3]
	s_cbranch_execz .LBB30_447
.LBB30_450:
	v_and_b32_e32 v3, 1, v10
	v_cmp_eq_u32_e64 s[2:3], 1, v3
	v_mov_b32_e32 v3, v1
	s_and_saveexec_b64 s[8:9], s[2:3]
	s_cbranch_execz .LBB30_454
; %bb.451:
	v_and_b32_e32 v3, 1, v8
	v_cmp_eq_u32_e64 s[2:3], 1, v3
	v_mov_b32_e32 v3, v2
	s_and_saveexec_b64 s[10:11], s[2:3]
; %bb.452:
	v_cmp_lt_f32_e64 s[2:3], v2, v1
	v_cndmask_b32_e64 v8, v2, v1, s[2:3]
	v_cmp_lt_f32_e64 s[2:3], v1, v2
	v_cndmask_b32_e64 v3, v2, v1, s[2:3]
	v_mov_b32_e32 v10, 1
	v_mov_b32_e32 v2, v8
; %bb.453:
	s_or_b64 exec, exec, s[10:11]
	v_mov_b32_e32 v1, v2
	v_mov_b32_e32 v8, v10
.LBB30_454:
	s_or_b64 exec, exec, s[8:9]
	v_mov_b32_e32 v10, v8
	v_mov_b32_e32 v2, v3
	;; [unrolled: 1-line block ×3, first 2 shown]
	s_or_b64 exec, exec, s[4:5]
	s_and_saveexec_b64 s[2:3], s[0:1]
	s_cbranch_execz .LBB30_448
.LBB30_455:
	v_and_b32_e32 v1, 1, v10
	v_cmp_eq_u32_e64 s[0:1], 1, v1
	v_mov_b32_e32 v1, v5
	s_and_saveexec_b64 s[4:5], s[0:1]
	s_cbranch_execz .LBB30_459
; %bb.456:
	v_and_b32_e32 v1, 1, v7
	v_cmp_eq_u32_e64 s[0:1], 1, v1
	s_and_saveexec_b64 s[8:9], s[0:1]
; %bb.457:
	v_cmp_lt_f32_e64 s[0:1], v3, v5
	v_cndmask_b32_e64 v3, v3, v5, s[0:1]
	v_cmp_lt_f32_e64 s[0:1], v5, v2
	v_cndmask_b32_e64 v2, v2, v5, s[0:1]
	v_mov_b32_e32 v10, 1
; %bb.458:
	s_or_b64 exec, exec, s[8:9]
	v_mov_b32_e32 v5, v3
	v_mov_b32_e32 v1, v2
	;; [unrolled: 1-line block ×3, first 2 shown]
.LBB30_459:
	s_or_b64 exec, exec, s[4:5]
	v_mov_b32_e32 v10, v7
	v_mov_b32_e32 v2, v1
	;; [unrolled: 1-line block ×3, first 2 shown]
	s_or_b64 exec, exec, s[2:3]
	s_and_saveexec_b64 s[0:1], vcc
	s_cbranch_execz .LBB30_465
.LBB30_460:
	v_and_b32_e32 v1, 1, v10
	v_cmp_eq_u32_e32 vcc, 1, v1
	s_waitcnt vmcnt(0)
	v_mov_b32_e32 v5, v4
	s_and_saveexec_b64 s[2:3], vcc
	s_cbranch_execz .LBB30_464
; %bb.461:
	v_and_b32_e32 v1, 1, v6
	v_cmp_eq_u32_e32 vcc, 1, v1
	s_and_saveexec_b64 s[4:5], vcc
; %bb.462:
	v_cmp_lt_f32_e32 vcc, v3, v4
	v_cndmask_b32_e32 v3, v3, v4, vcc
	v_cmp_lt_f32_e32 vcc, v4, v2
	v_cndmask_b32_e32 v2, v2, v4, vcc
	v_mov_b32_e32 v10, 1
; %bb.463:
	s_or_b64 exec, exec, s[4:5]
	v_pk_mov_b32 v[4:5], v[2:3], v[2:3] op_sel:[0,1]
	v_mov_b32_e32 v6, v10
.LBB30_464:
	s_or_b64 exec, exec, s[2:3]
	v_mov_b32_e32 v10, v6
	v_pk_mov_b32 v[2:3], v[4:5], v[4:5] op_sel:[0,1]
.LBB30_465:
	s_or_b64 exec, exec, s[0:1]
	v_mbcnt_lo_u32_b32 v1, -1, 0
	v_mbcnt_hi_u32_b32 v1, -1, v1
	v_and_b32_e32 v7, 63, v1
	s_min_u32 s8, s12, 0x100
	s_waitcnt vmcnt(0)
	v_and_b32_e32 v4, 0xc0, v0
	v_cmp_ne_u32_e32 vcc, 63, v7
	v_sub_u32_e64 v6, s8, v4 clamp
	v_addc_co_u32_e32 v4, vcc, 0, v1, vcc
	v_and_b32_e32 v9, 0xffff, v10
	v_lshlrev_b32_e32 v5, 2, v4
	ds_bpermute_b32 v13, v5, v9
	ds_bpermute_b32 v4, v5, v2
	;; [unrolled: 1-line block ×3, first 2 shown]
	v_add_u32_e32 v8, 1, v7
	v_cmp_lt_u32_e32 vcc, v8, v6
	v_mov_b32_e32 v8, v9
	v_mov_b32_e32 v11, v2
	v_mov_b32_e32 v12, v3
	s_and_saveexec_b64 s[0:1], vcc
	s_xor_b64 s[0:1], exec, s[0:1]
	s_cbranch_execz .LBB30_471
; %bb.466:
	v_and_b32_e32 v8, 1, v10
	v_cmp_eq_u32_e32 vcc, 1, v8
	s_and_saveexec_b64 s[2:3], vcc
	s_cbranch_execz .LBB30_470
; %bb.467:
	s_waitcnt lgkmcnt(2)
	v_and_b32_e32 v8, 1, v13
	v_cmp_eq_u32_e32 vcc, 1, v8
	s_and_saveexec_b64 s[4:5], vcc
	s_cbranch_execz .LBB30_469
; %bb.468:
	s_waitcnt lgkmcnt(0)
	v_cmp_lt_f32_e32 vcc, v3, v5
	v_cndmask_b32_e32 v3, v3, v5, vcc
	v_cmp_gt_f32_e32 vcc, v2, v4
	v_cndmask_b32_e32 v2, v2, v4, vcc
	v_mov_b32_e32 v9, 1
.LBB30_469:
	s_or_b64 exec, exec, s[4:5]
	v_mov_b32_e32 v13, v9
	s_waitcnt lgkmcnt(0)
	v_pk_mov_b32 v[4:5], v[2:3], v[2:3] op_sel:[0,1]
.LBB30_470:
	s_or_b64 exec, exec, s[2:3]
	s_waitcnt lgkmcnt(2)
	v_and_b32_e32 v8, 0xff, v13
	s_waitcnt lgkmcnt(0)
	v_pk_mov_b32 v[2:3], v[4:5], v[4:5] op_sel:[0,1]
	v_mov_b32_e32 v9, v13
	v_mov_b32_e32 v11, v4
	;; [unrolled: 1-line block ×3, first 2 shown]
.LBB30_471:
	s_or_b64 exec, exec, s[0:1]
	v_cmp_gt_u32_e32 vcc, 62, v7
	s_waitcnt lgkmcnt(1)
	v_cndmask_b32_e64 v4, 0, 1, vcc
	v_lshlrev_b32_e32 v4, 1, v4
	s_waitcnt lgkmcnt(0)
	v_add_lshl_u32 v5, v4, v1, 2
	ds_bpermute_b32 v10, v5, v8
	ds_bpermute_b32 v4, v5, v11
	;; [unrolled: 1-line block ×3, first 2 shown]
	v_add_u32_e32 v13, 2, v7
	v_cmp_lt_u32_e32 vcc, v13, v6
	s_and_saveexec_b64 s[0:1], vcc
	s_cbranch_execz .LBB30_477
; %bb.472:
	v_and_b32_e32 v8, 1, v9
	v_cmp_eq_u32_e32 vcc, 1, v8
	s_and_saveexec_b64 s[2:3], vcc
	s_cbranch_execz .LBB30_476
; %bb.473:
	s_waitcnt lgkmcnt(2)
	v_and_b32_e32 v8, 1, v10
	v_cmp_eq_u32_e32 vcc, 1, v8
	s_and_saveexec_b64 s[4:5], vcc
	s_cbranch_execz .LBB30_475
; %bb.474:
	s_waitcnt lgkmcnt(0)
	v_cmp_lt_f32_e32 vcc, v3, v5
	v_cndmask_b32_e32 v3, v3, v5, vcc
	v_cmp_lt_f32_e32 vcc, v4, v2
	v_cndmask_b32_e32 v2, v2, v4, vcc
	v_mov_b32_e32 v9, 1
.LBB30_475:
	s_or_b64 exec, exec, s[4:5]
	v_mov_b32_e32 v10, v9
	s_waitcnt lgkmcnt(0)
	v_pk_mov_b32 v[4:5], v[2:3], v[2:3] op_sel:[0,1]
.LBB30_476:
	s_or_b64 exec, exec, s[2:3]
	s_waitcnt lgkmcnt(2)
	v_and_b32_e32 v8, 0xff, v10
	s_waitcnt lgkmcnt(0)
	v_pk_mov_b32 v[2:3], v[4:5], v[4:5] op_sel:[0,1]
	v_mov_b32_e32 v9, v10
	v_mov_b32_e32 v11, v4
	;; [unrolled: 1-line block ×3, first 2 shown]
.LBB30_477:
	s_or_b64 exec, exec, s[0:1]
	v_cmp_gt_u32_e32 vcc, 60, v7
	s_waitcnt lgkmcnt(1)
	v_cndmask_b32_e64 v4, 0, 1, vcc
	v_lshlrev_b32_e32 v4, 2, v4
	s_waitcnt lgkmcnt(0)
	v_add_lshl_u32 v5, v4, v1, 2
	ds_bpermute_b32 v10, v5, v8
	ds_bpermute_b32 v4, v5, v11
	;; [unrolled: 1-line block ×3, first 2 shown]
	v_add_u32_e32 v13, 4, v7
	v_cmp_lt_u32_e32 vcc, v13, v6
	s_and_saveexec_b64 s[0:1], vcc
	s_cbranch_execz .LBB30_483
; %bb.478:
	v_and_b32_e32 v8, 1, v9
	v_cmp_eq_u32_e32 vcc, 1, v8
	s_and_saveexec_b64 s[2:3], vcc
	s_cbranch_execz .LBB30_482
; %bb.479:
	s_waitcnt lgkmcnt(2)
	v_and_b32_e32 v8, 1, v10
	v_cmp_eq_u32_e32 vcc, 1, v8
	s_and_saveexec_b64 s[4:5], vcc
	s_cbranch_execz .LBB30_481
; %bb.480:
	s_waitcnt lgkmcnt(0)
	v_cmp_lt_f32_e32 vcc, v3, v5
	v_cndmask_b32_e32 v3, v3, v5, vcc
	v_cmp_lt_f32_e32 vcc, v4, v2
	v_cndmask_b32_e32 v2, v2, v4, vcc
	v_mov_b32_e32 v9, 1
.LBB30_481:
	s_or_b64 exec, exec, s[4:5]
	v_mov_b32_e32 v10, v9
	s_waitcnt lgkmcnt(0)
	v_pk_mov_b32 v[4:5], v[2:3], v[2:3] op_sel:[0,1]
.LBB30_482:
	s_or_b64 exec, exec, s[2:3]
	s_waitcnt lgkmcnt(2)
	v_and_b32_e32 v8, 0xff, v10
	s_waitcnt lgkmcnt(0)
	v_pk_mov_b32 v[2:3], v[4:5], v[4:5] op_sel:[0,1]
	v_mov_b32_e32 v9, v10
	v_mov_b32_e32 v11, v4
	;; [unrolled: 1-line block ×3, first 2 shown]
.LBB30_483:
	s_or_b64 exec, exec, s[0:1]
	v_cmp_gt_u32_e32 vcc, 56, v7
	s_waitcnt lgkmcnt(1)
	v_cndmask_b32_e64 v4, 0, 1, vcc
	v_lshlrev_b32_e32 v4, 3, v4
	s_waitcnt lgkmcnt(0)
	v_add_lshl_u32 v5, v4, v1, 2
	ds_bpermute_b32 v10, v5, v8
	ds_bpermute_b32 v4, v5, v11
	;; [unrolled: 1-line block ×3, first 2 shown]
	v_add_u32_e32 v13, 8, v7
	v_cmp_lt_u32_e32 vcc, v13, v6
	s_and_saveexec_b64 s[0:1], vcc
	s_cbranch_execz .LBB30_489
; %bb.484:
	v_and_b32_e32 v8, 1, v9
	v_cmp_eq_u32_e32 vcc, 1, v8
	s_and_saveexec_b64 s[2:3], vcc
	s_cbranch_execz .LBB30_488
; %bb.485:
	s_waitcnt lgkmcnt(2)
	v_and_b32_e32 v8, 1, v10
	v_cmp_eq_u32_e32 vcc, 1, v8
	s_and_saveexec_b64 s[4:5], vcc
	s_cbranch_execz .LBB30_487
; %bb.486:
	s_waitcnt lgkmcnt(0)
	v_cmp_gt_f32_e32 vcc, v5, v3
	v_cndmask_b32_e32 v3, v3, v5, vcc
	v_cmp_gt_f32_e32 vcc, v2, v4
	v_cndmask_b32_e32 v2, v2, v4, vcc
	v_mov_b32_e32 v9, 1
.LBB30_487:
	s_or_b64 exec, exec, s[4:5]
	v_mov_b32_e32 v10, v9
	s_waitcnt lgkmcnt(0)
	v_pk_mov_b32 v[4:5], v[2:3], v[2:3] op_sel:[0,1]
.LBB30_488:
	s_or_b64 exec, exec, s[2:3]
	s_waitcnt lgkmcnt(2)
	v_and_b32_e32 v8, 0xff, v10
	s_waitcnt lgkmcnt(0)
	v_pk_mov_b32 v[2:3], v[4:5], v[4:5] op_sel:[0,1]
	v_mov_b32_e32 v9, v10
	v_mov_b32_e32 v11, v4
	;; [unrolled: 1-line block ×3, first 2 shown]
.LBB30_489:
	s_or_b64 exec, exec, s[0:1]
	v_cmp_gt_u32_e32 vcc, 48, v7
	s_waitcnt lgkmcnt(1)
	v_cndmask_b32_e64 v4, 0, 1, vcc
	v_lshlrev_b32_e32 v4, 4, v4
	s_waitcnt lgkmcnt(0)
	v_add_lshl_u32 v5, v4, v1, 2
	ds_bpermute_b32 v10, v5, v8
	ds_bpermute_b32 v4, v5, v11
	;; [unrolled: 1-line block ×3, first 2 shown]
	v_add_u32_e32 v13, 16, v7
	v_cmp_lt_u32_e32 vcc, v13, v6
	s_and_saveexec_b64 s[0:1], vcc
	s_cbranch_execz .LBB30_495
; %bb.490:
	v_and_b32_e32 v8, 1, v9
	v_cmp_eq_u32_e32 vcc, 1, v8
	s_and_saveexec_b64 s[2:3], vcc
	s_cbranch_execz .LBB30_494
; %bb.491:
	s_waitcnt lgkmcnt(2)
	v_and_b32_e32 v8, 1, v10
	v_cmp_eq_u32_e32 vcc, 1, v8
	s_and_saveexec_b64 s[4:5], vcc
	s_cbranch_execz .LBB30_493
; %bb.492:
	s_waitcnt lgkmcnt(0)
	v_cmp_gt_f32_e32 vcc, v5, v3
	v_cndmask_b32_e32 v3, v3, v5, vcc
	v_cmp_gt_f32_e32 vcc, v2, v4
	v_cndmask_b32_e32 v2, v2, v4, vcc
	v_mov_b32_e32 v9, 1
.LBB30_493:
	s_or_b64 exec, exec, s[4:5]
	v_mov_b32_e32 v10, v9
	s_waitcnt lgkmcnt(0)
	v_pk_mov_b32 v[4:5], v[2:3], v[2:3] op_sel:[0,1]
.LBB30_494:
	s_or_b64 exec, exec, s[2:3]
	s_waitcnt lgkmcnt(2)
	v_and_b32_e32 v8, 0xff, v10
	s_waitcnt lgkmcnt(0)
	v_pk_mov_b32 v[2:3], v[4:5], v[4:5] op_sel:[0,1]
	v_mov_b32_e32 v9, v10
	v_mov_b32_e32 v11, v4
	;; [unrolled: 1-line block ×3, first 2 shown]
.LBB30_495:
	s_or_b64 exec, exec, s[0:1]
	v_cmp_gt_u32_e32 vcc, 32, v7
	s_waitcnt lgkmcnt(1)
	v_cndmask_b32_e64 v4, 0, 1, vcc
	v_lshlrev_b32_e32 v4, 5, v4
	s_waitcnt lgkmcnt(0)
	v_add_lshl_u32 v5, v4, v1, 2
	ds_bpermute_b32 v10, v5, v8
	ds_bpermute_b32 v4, v5, v11
	;; [unrolled: 1-line block ×3, first 2 shown]
	v_add_u32_e32 v7, 32, v7
	v_cmp_lt_u32_e32 vcc, v7, v6
	s_and_saveexec_b64 s[0:1], vcc
	s_cbranch_execz .LBB30_501
; %bb.496:
	v_and_b32_e32 v6, 1, v9
	v_cmp_eq_u32_e32 vcc, 1, v6
	s_and_saveexec_b64 s[2:3], vcc
	s_cbranch_execz .LBB30_500
; %bb.497:
	s_waitcnt lgkmcnt(2)
	v_and_b32_e32 v6, 1, v10
	v_cmp_eq_u32_e32 vcc, 1, v6
	s_and_saveexec_b64 s[4:5], vcc
	s_cbranch_execz .LBB30_499
; %bb.498:
	s_waitcnt lgkmcnt(0)
	v_cmp_gt_f32_e32 vcc, v5, v3
	v_cndmask_b32_e32 v3, v3, v5, vcc
	v_cmp_gt_f32_e32 vcc, v2, v4
	v_cndmask_b32_e32 v2, v2, v4, vcc
	v_mov_b32_e32 v9, 1
.LBB30_499:
	s_or_b64 exec, exec, s[4:5]
	v_mov_b32_e32 v10, v9
	s_waitcnt lgkmcnt(0)
	v_pk_mov_b32 v[4:5], v[2:3], v[2:3] op_sel:[0,1]
.LBB30_500:
	s_or_b64 exec, exec, s[2:3]
	s_waitcnt lgkmcnt(2)
	v_and_b32_e32 v8, 0xff, v10
	s_waitcnt lgkmcnt(0)
	v_pk_mov_b32 v[2:3], v[4:5], v[4:5] op_sel:[0,1]
	v_mov_b32_e32 v9, v10
.LBB30_501:
	s_or_b64 exec, exec, s[0:1]
	v_cmp_eq_u32_e32 vcc, 0, v1
	s_and_saveexec_b64 s[0:1], vcc
	s_cbranch_execz .LBB30_503
; %bb.502:
	s_waitcnt lgkmcnt(1)
	v_lshrrev_b32_e32 v4, 6, v0
	v_mul_u32_u24_e32 v4, 12, v4
	ds_write_b8 v4, v9
	ds_write2_b32 v4, v2, v3 offset0:1 offset1:2
.LBB30_503:
	s_or_b64 exec, exec, s[0:1]
	v_cmp_gt_u32_e32 vcc, 4, v0
	s_waitcnt lgkmcnt(0)
	s_barrier
	s_and_saveexec_b64 s[0:1], vcc
	s_cbranch_execz .LBB30_517
; %bb.504:
	v_mul_u32_u24_e32 v2, 12, v1
	ds_read_u8 v6, v2
	ds_read2_b32 v[2:3], v2 offset0:1 offset1:2
	v_and_b32_e32 v7, 3, v1
	v_cmp_ne_u32_e32 vcc, 3, v7
	v_addc_co_u32_e32 v4, vcc, 0, v1, vcc
	s_waitcnt lgkmcnt(1)
	v_and_b32_e32 v8, 0xff, v6
	v_lshlrev_b32_e32 v5, 2, v4
	ds_bpermute_b32 v9, v5, v8
	s_waitcnt lgkmcnt(1)
	ds_bpermute_b32 v4, v5, v2
	ds_bpermute_b32 v5, v5, v3
	s_add_i32 s8, s8, 63
	s_lshr_b32 s10, s8, 6
	v_add_u32_e32 v10, 1, v7
	v_cmp_gt_u32_e32 vcc, s10, v10
	v_mov_b32_e32 v10, v2
	v_mov_b32_e32 v11, v3
	s_and_saveexec_b64 s[2:3], vcc
	s_cbranch_execz .LBB30_510
; %bb.505:
	v_and_b32_e32 v8, 1, v6
	v_cmp_eq_u32_e32 vcc, 1, v8
	s_and_saveexec_b64 s[4:5], vcc
	s_cbranch_execz .LBB30_509
; %bb.506:
	s_waitcnt lgkmcnt(2)
	v_and_b32_e32 v8, 1, v9
	v_cmp_eq_u32_e32 vcc, 1, v8
	s_and_saveexec_b64 s[8:9], vcc
	s_cbranch_execz .LBB30_508
; %bb.507:
	s_waitcnt lgkmcnt(0)
	v_cmp_gt_f32_e32 vcc, v5, v3
	v_cndmask_b32_e32 v3, v3, v5, vcc
	v_cmp_gt_f32_e32 vcc, v2, v4
	v_cndmask_b32_e32 v2, v2, v4, vcc
	v_mov_b32_e32 v6, 1
.LBB30_508:
	s_or_b64 exec, exec, s[8:9]
	v_mov_b32_e32 v9, v6
	s_waitcnt lgkmcnt(0)
	v_pk_mov_b32 v[4:5], v[2:3], v[2:3] op_sel:[0,1]
.LBB30_509:
	s_or_b64 exec, exec, s[4:5]
	s_waitcnt lgkmcnt(2)
	v_and_b32_e32 v8, 0xff, v9
	s_waitcnt lgkmcnt(0)
	v_pk_mov_b32 v[2:3], v[4:5], v[4:5] op_sel:[0,1]
	v_mov_b32_e32 v6, v9
	v_mov_b32_e32 v10, v4
	v_mov_b32_e32 v11, v5
.LBB30_510:
	s_or_b64 exec, exec, s[2:3]
	v_cmp_gt_u32_e32 vcc, 2, v7
	s_waitcnt lgkmcnt(1)
	v_cndmask_b32_e64 v4, 0, 1, vcc
	v_lshlrev_b32_e32 v4, 1, v4
	s_waitcnt lgkmcnt(0)
	v_add_lshl_u32 v5, v4, v1, 2
	ds_bpermute_b32 v1, v5, v8
	ds_bpermute_b32 v4, v5, v10
	;; [unrolled: 1-line block ×3, first 2 shown]
	v_add_u32_e32 v7, 2, v7
	v_cmp_gt_u32_e32 vcc, s10, v7
	s_and_saveexec_b64 s[2:3], vcc
	s_cbranch_execz .LBB30_516
; %bb.511:
	v_and_b32_e32 v7, 1, v6
	v_cmp_eq_u32_e32 vcc, 1, v7
	s_and_saveexec_b64 s[4:5], vcc
	s_cbranch_execz .LBB30_515
; %bb.512:
	s_waitcnt lgkmcnt(2)
	v_and_b32_e32 v1, 1, v1
	v_cmp_eq_u32_e32 vcc, 1, v1
	s_and_saveexec_b64 s[8:9], vcc
	s_cbranch_execz .LBB30_514
; %bb.513:
	s_waitcnt lgkmcnt(0)
	v_cmp_gt_f32_e32 vcc, v5, v3
	v_cndmask_b32_e32 v3, v3, v5, vcc
	v_cmp_gt_f32_e32 vcc, v2, v4
	v_cndmask_b32_e32 v2, v2, v4, vcc
	v_mov_b32_e32 v6, 1
.LBB30_514:
	s_or_b64 exec, exec, s[8:9]
	v_mov_b32_e32 v1, v6
	s_waitcnt lgkmcnt(0)
	v_pk_mov_b32 v[4:5], v[2:3], v[2:3] op_sel:[0,1]
.LBB30_515:
	s_or_b64 exec, exec, s[4:5]
	s_waitcnt lgkmcnt(2)
	v_and_b32_e32 v8, 0xff, v1
	s_waitcnt lgkmcnt(0)
	v_pk_mov_b32 v[2:3], v[4:5], v[4:5] op_sel:[0,1]
.LBB30_516:
	s_or_b64 exec, exec, s[2:3]
.LBB30_517:
	s_or_b64 exec, exec, s[0:1]
.LBB30_518:
	v_cmp_eq_u32_e32 vcc, 0, v0
                                        ; implicit-def: $vgpr4_vgpr5
                                        ; implicit-def: $vgpr1
	s_and_saveexec_b64 s[0:1], vcc
	s_xor_b64 s[4:5], exec, s[0:1]
	s_cbranch_execz .LBB30_524
; %bb.519:
	s_cmp_eq_u64 s[40:41], 0
	s_waitcnt lgkmcnt(0)
	v_pk_mov_b32 v[4:5], s[44:45], s[44:45] op_sel:[0,1]
	v_mov_b32_e32 v1, s33
	s_cbranch_scc1 .LBB30_523
; %bb.520:
	s_bitcmp0_b32 s33, 0
	s_cbranch_scc1 .LBB30_522
; %bb.521:
	v_and_b32_e32 v1, 1, v8
	v_cmp_lt_f32_e32 vcc, s45, v3
	v_cmp_eq_u32_e64 s[2:3], 1, v1
	v_cmp_gt_f32_e64 s[0:1], s44, v2
	v_mov_b32_e32 v1, s45
	s_and_b64 vcc, s[2:3], vcc
	v_mov_b32_e32 v4, s33
	v_cndmask_b32_e32 v3, v1, v3, vcc
	v_mov_b32_e32 v1, s44
	s_and_b64 vcc, s[2:3], s[0:1]
	v_cndmask_b32_e64 v8, v4, 1, s[2:3]
	v_cndmask_b32_e32 v2, v1, v2, vcc
.LBB30_522:
	v_pk_mov_b32 v[4:5], v[2:3], v[2:3] op_sel:[0,1]
	v_mov_b32_e32 v1, v8
.LBB30_523:
	s_or_b64 s[18:19], s[18:19], exec
.LBB30_524:
	s_or_b64 exec, exec, s[4:5]
	s_branch .LBB30_680
.LBB30_525:
	s_cmp_gt_i32 s46, 1
	s_cbranch_scc0 .LBB30_567
; %bb.526:
	s_cmp_eq_u32 s46, 2
	s_cbranch_scc0 .LBB30_568
; %bb.527:
	s_mov_b32 s7, 0
	s_lshl_b32 s8, s6, 9
	s_mov_b32 s9, s7
	s_lshr_b64 s[0:1], s[40:41], 9
	s_add_i32 s12, s47, s8
	s_lshl_b64 s[2:3], s[8:9], 2
	s_add_u32 s4, s36, s2
	s_addc_u32 s5, s37, s3
	s_cmp_lg_u64 s[0:1], s[6:7]
	s_cbranch_scc0 .LBB30_569
; %bb.528:
	s_waitcnt lgkmcnt(1)
	v_lshlrev_b32_e32 v4, 2, v0
	global_load_dword v2, v4, s[4:5] offset:1024
	s_abs_i32 s2, s39
	v_cvt_f32_u32_e32 v1, s2
	s_sub_i32 s0, 0, s2
	s_waitcnt lgkmcnt(0)
	v_add_u32_e32 v3, s12, v0
	v_sub_u32_e32 v6, 0, v3
	v_rcp_iflag_f32_e32 v1, v1
	v_max_i32_e32 v6, v3, v6
	v_ashrrev_i32_e32 v5, 31, v3
	v_add_u32_e32 v3, 0x100, v3
	v_mul_f32_e32 v1, 0x4f7ffffe, v1
	v_cvt_u32_f32_e32 v1, v1
	v_mul_lo_u32 v7, s0, v1
	v_mul_hi_u32 v7, v1, v7
	v_add_u32_e32 v1, v1, v7
	v_mul_hi_u32 v7, v6, v1
	v_mul_lo_u32 v7, v7, s2
	v_sub_u32_e32 v6, v6, v7
	v_subrev_u32_e32 v7, s2, v6
	v_cmp_le_u32_e32 vcc, s2, v6
	v_cndmask_b32_e32 v6, v6, v7, vcc
	v_subrev_u32_e32 v7, s2, v6
	v_cmp_le_u32_e32 vcc, s2, v6
	v_cndmask_b32_e32 v6, v6, v7, vcc
	v_xor_b32_e32 v6, v6, v5
	v_sub_u32_e32 v5, v6, v5
	v_sub_u32_e32 v6, 0, v3
	v_cmp_gt_i32_e64 s[0:1], s38, v5
	v_ashrrev_i32_e32 v5, 31, v3
	v_max_i32_e32 v3, v3, v6
	v_mul_hi_u32 v1, v3, v1
	v_mul_lo_u32 v1, v1, s2
	v_sub_u32_e32 v1, v3, v1
	v_subrev_u32_e32 v3, s2, v1
	v_cmp_le_u32_e32 vcc, s2, v1
	v_cndmask_b32_e32 v1, v1, v3, vcc
	v_subrev_u32_e32 v3, s2, v1
	v_cmp_le_u32_e32 vcc, s2, v1
	v_cndmask_b32_e32 v1, v1, v3, vcc
	v_xor_b32_e32 v1, v1, v5
	v_sub_u32_e32 v1, v1, v5
	v_cmp_gt_i32_e32 vcc, s38, v1
	v_cndmask_b32_e64 v1, 0, 1, vcc
	s_waitcnt vmcnt(0)
	v_mov_b32_e32 v3, v2
	s_and_saveexec_b64 s[10:11], s[0:1]
	s_cbranch_execz .LBB30_530
; %bb.529:
	v_mov_b32_e32 v1, s5
	v_add_co_u32_e64 v4, s[0:1], s4, v4
	v_addc_co_u32_e64 v5, s[0:1], 0, v1, s[0:1]
	global_load_dword v1, v[4:5], off
	s_waitcnt vmcnt(0)
	v_cmp_lt_f32_e64 s[0:1], v2, v1
	v_cmp_lt_f32_e64 s[2:3], v1, v2
	s_and_b64 s[0:1], vcc, s[0:1]
	s_and_b64 vcc, vcc, s[2:3]
	v_cndmask_b32_e64 v4, v1, v2, s[0:1]
	v_cndmask_b32_e32 v5, v1, v2, vcc
	v_mov_b32_e32 v1, 1
	v_pk_mov_b32 v[2:3], v[4:5], v[4:5] op_sel:[0,1]
.LBB30_530:
	s_or_b64 exec, exec, s[10:11]
	v_and_b32_e32 v4, 0xffff, v1
	v_mov_b32_dpp v5, v3 quad_perm:[1,0,3,2] row_mask:0xf bank_mask:0xf bound_ctrl:1
	s_nop 0
	v_mov_b32_dpp v6, v4 quad_perm:[1,0,3,2] row_mask:0xf bank_mask:0xf bound_ctrl:1
	v_and_b32_e32 v7, 1, v6
	v_mov_b32_dpp v4, v2 quad_perm:[1,0,3,2] row_mask:0xf bank_mask:0xf bound_ctrl:1
	v_cmp_eq_u32_e32 vcc, 1, v7
	s_and_saveexec_b64 s[0:1], vcc
	s_cbranch_execz .LBB30_534
; %bb.531:
	v_and_b32_e32 v1, 1, v1
	v_cmp_eq_u32_e32 vcc, 1, v1
	s_and_saveexec_b64 s[2:3], vcc
; %bb.532:
	v_cmp_gt_f32_e32 vcc, v3, v5
	v_cndmask_b32_e32 v5, v5, v3, vcc
	v_cmp_lt_f32_e32 vcc, v2, v4
	v_cndmask_b32_e32 v4, v4, v2, vcc
	v_mov_b32_e32 v6, 1
; %bb.533:
	s_or_b64 exec, exec, s[2:3]
	v_mov_b32_e32 v1, v6
	v_pk_mov_b32 v[2:3], v[4:5], v[4:5] op_sel:[0,1]
.LBB30_534:
	s_or_b64 exec, exec, s[0:1]
	v_and_b32_e32 v4, 0xff, v1
	v_mov_b32_dpp v5, v3 quad_perm:[2,3,0,1] row_mask:0xf bank_mask:0xf bound_ctrl:1
	s_nop 0
	v_mov_b32_dpp v6, v4 quad_perm:[2,3,0,1] row_mask:0xf bank_mask:0xf bound_ctrl:1
	v_and_b32_e32 v7, 1, v6
	v_mov_b32_dpp v4, v2 quad_perm:[2,3,0,1] row_mask:0xf bank_mask:0xf bound_ctrl:1
	v_cmp_eq_u32_e32 vcc, 1, v7
	s_and_saveexec_b64 s[0:1], vcc
	s_cbranch_execz .LBB30_538
; %bb.535:
	v_and_b32_e32 v1, 1, v1
	v_cmp_eq_u32_e32 vcc, 1, v1
	s_and_saveexec_b64 s[2:3], vcc
; %bb.536:
	v_cmp_lt_f32_e32 vcc, v5, v3
	v_cndmask_b32_e32 v5, v5, v3, vcc
	v_cmp_lt_f32_e32 vcc, v2, v4
	v_cndmask_b32_e32 v4, v4, v2, vcc
	v_mov_b32_e32 v6, 1
; %bb.537:
	s_or_b64 exec, exec, s[2:3]
	v_mov_b32_e32 v1, v6
	v_pk_mov_b32 v[2:3], v[4:5], v[4:5] op_sel:[0,1]
.LBB30_538:
	s_or_b64 exec, exec, s[0:1]
	v_and_b32_e32 v4, 0xff, v1
	v_mov_b32_dpp v5, v3 row_ror:4 row_mask:0xf bank_mask:0xf bound_ctrl:1
	s_nop 0
	v_mov_b32_dpp v6, v4 row_ror:4 row_mask:0xf bank_mask:0xf bound_ctrl:1
	v_and_b32_e32 v7, 1, v6
	v_mov_b32_dpp v4, v2 row_ror:4 row_mask:0xf bank_mask:0xf bound_ctrl:1
	v_cmp_eq_u32_e32 vcc, 1, v7
	s_and_saveexec_b64 s[0:1], vcc
	s_cbranch_execz .LBB30_542
; %bb.539:
	v_and_b32_e32 v1, 1, v1
	v_cmp_eq_u32_e32 vcc, 1, v1
	s_and_saveexec_b64 s[2:3], vcc
; %bb.540:
	v_cmp_lt_f32_e32 vcc, v5, v3
	v_cndmask_b32_e32 v5, v5, v3, vcc
	v_cmp_lt_f32_e32 vcc, v2, v4
	v_cndmask_b32_e32 v4, v4, v2, vcc
	v_mov_b32_e32 v6, 1
; %bb.541:
	s_or_b64 exec, exec, s[2:3]
	v_mov_b32_e32 v1, v6
	v_pk_mov_b32 v[2:3], v[4:5], v[4:5] op_sel:[0,1]
.LBB30_542:
	s_or_b64 exec, exec, s[0:1]
	v_and_b32_e32 v4, 0xff, v1
	v_mov_b32_dpp v5, v3 row_ror:8 row_mask:0xf bank_mask:0xf bound_ctrl:1
	s_nop 0
	v_mov_b32_dpp v6, v4 row_ror:8 row_mask:0xf bank_mask:0xf bound_ctrl:1
	v_and_b32_e32 v7, 1, v6
	v_mov_b32_dpp v4, v2 row_ror:8 row_mask:0xf bank_mask:0xf bound_ctrl:1
	v_cmp_eq_u32_e32 vcc, 1, v7
	s_and_saveexec_b64 s[0:1], vcc
	s_cbranch_execz .LBB30_546
; %bb.543:
	v_and_b32_e32 v1, 1, v1
	v_cmp_eq_u32_e32 vcc, 1, v1
	s_and_saveexec_b64 s[2:3], vcc
; %bb.544:
	v_cmp_lt_f32_e32 vcc, v5, v3
	v_cndmask_b32_e32 v5, v5, v3, vcc
	v_cmp_lt_f32_e32 vcc, v2, v4
	v_cndmask_b32_e32 v4, v4, v2, vcc
	v_mov_b32_e32 v6, 1
; %bb.545:
	s_or_b64 exec, exec, s[2:3]
	v_mov_b32_e32 v1, v6
	v_pk_mov_b32 v[2:3], v[4:5], v[4:5] op_sel:[0,1]
.LBB30_546:
	s_or_b64 exec, exec, s[0:1]
	v_and_b32_e32 v4, 0xff, v1
	v_mov_b32_dpp v5, v3 row_bcast:15 row_mask:0xf bank_mask:0xf bound_ctrl:1
	s_nop 0
	v_mov_b32_dpp v6, v4 row_bcast:15 row_mask:0xf bank_mask:0xf bound_ctrl:1
	v_and_b32_e32 v7, 1, v6
	v_mov_b32_dpp v4, v2 row_bcast:15 row_mask:0xf bank_mask:0xf bound_ctrl:1
	v_cmp_eq_u32_e32 vcc, 1, v7
	s_and_saveexec_b64 s[0:1], vcc
	s_cbranch_execz .LBB30_550
; %bb.547:
	v_and_b32_e32 v1, 1, v1
	v_cmp_eq_u32_e32 vcc, 1, v1
	s_and_saveexec_b64 s[2:3], vcc
; %bb.548:
	v_cmp_lt_f32_e32 vcc, v5, v3
	v_cndmask_b32_e32 v5, v5, v3, vcc
	v_cmp_lt_f32_e32 vcc, v2, v4
	v_cndmask_b32_e32 v4, v4, v2, vcc
	v_mov_b32_e32 v6, 1
; %bb.549:
	s_or_b64 exec, exec, s[2:3]
	v_mov_b32_e32 v1, v6
	v_pk_mov_b32 v[2:3], v[4:5], v[4:5] op_sel:[0,1]
.LBB30_550:
	s_or_b64 exec, exec, s[0:1]
	v_and_b32_e32 v4, 0xff, v1
	v_mov_b32_dpp v5, v3 row_bcast:31 row_mask:0xf bank_mask:0xf bound_ctrl:1
	s_nop 0
	v_mov_b32_dpp v6, v4 row_bcast:31 row_mask:0xf bank_mask:0xf bound_ctrl:1
	v_and_b32_e32 v7, 1, v6
	v_mov_b32_dpp v4, v2 row_bcast:31 row_mask:0xf bank_mask:0xf bound_ctrl:1
	v_cmp_eq_u32_e32 vcc, 1, v7
	s_and_saveexec_b64 s[0:1], vcc
	s_cbranch_execz .LBB30_554
; %bb.551:
	v_and_b32_e32 v1, 1, v1
	v_cmp_eq_u32_e32 vcc, 1, v1
	s_and_saveexec_b64 s[2:3], vcc
; %bb.552:
	v_cmp_lt_f32_e32 vcc, v5, v3
	v_cndmask_b32_e32 v5, v5, v3, vcc
	v_cmp_lt_f32_e32 vcc, v2, v4
	v_cndmask_b32_e32 v4, v4, v2, vcc
	v_mov_b32_e32 v6, 1
; %bb.553:
	s_or_b64 exec, exec, s[2:3]
	v_mov_b32_e32 v1, v6
	v_pk_mov_b32 v[2:3], v[4:5], v[4:5] op_sel:[0,1]
.LBB30_554:
	s_or_b64 exec, exec, s[0:1]
	v_mbcnt_lo_u32_b32 v4, -1, 0
	v_mbcnt_hi_u32_b32 v6, -1, v4
	v_bfrev_b32_e32 v4, 0.5
	v_and_b32_e32 v1, 0xff, v1
	v_lshl_or_b32 v4, v6, 2, v4
	ds_bpermute_b32 v9, v4, v1
	ds_bpermute_b32 v2, v4, v2
	;; [unrolled: 1-line block ×3, first 2 shown]
	v_cmp_eq_u32_e32 vcc, 0, v6
	s_and_saveexec_b64 s[0:1], vcc
	s_cbranch_execz .LBB30_556
; %bb.555:
	v_lshrrev_b32_e32 v1, 6, v0
	v_mul_u32_u24_e32 v1, 12, v1
	s_waitcnt lgkmcnt(2)
	ds_write_b8 v1, v9 offset:144
	s_waitcnt lgkmcnt(1)
	ds_write2_b32 v1, v2, v3 offset0:37 offset1:38
.LBB30_556:
	s_or_b64 exec, exec, s[0:1]
	v_cmp_gt_u32_e32 vcc, 64, v0
	s_waitcnt lgkmcnt(0)
	s_barrier
	s_and_saveexec_b64 s[0:1], vcc
	s_cbranch_execz .LBB30_566
; %bb.557:
	v_and_b32_e32 v7, 3, v6
	v_mul_u32_u24_e32 v1, 12, v7
	ds_read_u8 v8, v1 offset:144
	ds_read2_b32 v[2:3], v1 offset0:37 offset1:38
	v_cmp_ne_u32_e32 vcc, 3, v7
	v_addc_co_u32_e32 v1, vcc, 0, v6, vcc
	s_waitcnt lgkmcnt(1)
	v_and_b32_e32 v4, 0xff, v8
	v_lshlrev_b32_e32 v5, 2, v1
	ds_bpermute_b32 v1, v5, v4
	s_waitcnt lgkmcnt(1)
	ds_bpermute_b32 v4, v5, v2
	ds_bpermute_b32 v5, v5, v3
	v_and_b32_e32 v9, 1, v8
	v_cmp_eq_u32_e32 vcc, 1, v9
	s_and_saveexec_b64 s[2:3], vcc
	s_cbranch_execz .LBB30_561
; %bb.558:
	s_waitcnt lgkmcnt(2)
	v_and_b32_e32 v1, 1, v1
	v_cmp_eq_u32_e32 vcc, 1, v1
	s_and_saveexec_b64 s[10:11], vcc
	s_cbranch_execz .LBB30_560
; %bb.559:
	s_waitcnt lgkmcnt(0)
	v_cmp_gt_f32_e32 vcc, v5, v3
	v_cndmask_b32_e32 v3, v3, v5, vcc
	v_cmp_gt_f32_e32 vcc, v2, v4
	v_cndmask_b32_e32 v2, v2, v4, vcc
	v_mov_b32_e32 v8, 1
.LBB30_560:
	s_or_b64 exec, exec, s[10:11]
	v_mov_b32_e32 v1, v8
	s_waitcnt lgkmcnt(0)
	v_pk_mov_b32 v[4:5], v[2:3], v[2:3] op_sel:[0,1]
.LBB30_561:
	s_or_b64 exec, exec, s[2:3]
	v_cmp_gt_u32_e32 vcc, 2, v7
	v_cndmask_b32_e64 v3, 0, 1, vcc
	v_lshlrev_b32_e32 v3, 1, v3
	s_waitcnt lgkmcnt(2)
	v_and_b32_e32 v2, 0xff, v1
	v_add_lshl_u32 v3, v3, v6, 2
	ds_bpermute_b32 v6, v3, v2
	s_waitcnt lgkmcnt(2)
	ds_bpermute_b32 v2, v3, v4
	s_waitcnt lgkmcnt(2)
	ds_bpermute_b32 v3, v3, v5
	v_and_b32_e32 v7, 1, v1
	v_cmp_eq_u32_e32 vcc, 1, v7
	s_and_saveexec_b64 s[2:3], vcc
	s_cbranch_execz .LBB30_565
; %bb.562:
	s_waitcnt lgkmcnt(2)
	v_and_b32_e32 v6, 1, v6
	v_cmp_eq_u32_e32 vcc, 1, v6
	s_and_saveexec_b64 s[10:11], vcc
	s_cbranch_execz .LBB30_564
; %bb.563:
	s_waitcnt lgkmcnt(0)
	v_cmp_gt_f32_e32 vcc, v3, v5
	v_cndmask_b32_e32 v5, v5, v3, vcc
	v_cmp_gt_f32_e32 vcc, v4, v2
	v_cndmask_b32_e32 v4, v4, v2, vcc
	v_mov_b32_e32 v1, 1
.LBB30_564:
	s_or_b64 exec, exec, s[10:11]
	v_mov_b32_e32 v6, v1
	s_waitcnt lgkmcnt(0)
	v_pk_mov_b32 v[2:3], v[4:5], v[4:5] op_sel:[0,1]
.LBB30_565:
	s_or_b64 exec, exec, s[2:3]
	s_waitcnt lgkmcnt(2)
	v_and_b32_e32 v9, 0xff, v6
.LBB30_566:
	s_or_b64 exec, exec, s[0:1]
	s_branch .LBB30_633
.LBB30_567:
                                        ; implicit-def: $vgpr4_vgpr5
                                        ; implicit-def: $vgpr1
	s_cbranch_execnz .LBB30_640
	s_branch .LBB30_680
.LBB30_568:
                                        ; implicit-def: $vgpr4_vgpr5
                                        ; implicit-def: $vgpr1
	s_branch .LBB30_680
.LBB30_569:
                                        ; implicit-def: $vgpr2_vgpr3
                                        ; implicit-def: $vgpr9
	s_cbranch_execz .LBB30_633
; %bb.570:
	s_sub_i32 s8, s40, s8
	v_cmp_gt_u32_e32 vcc, s8, v0
	s_waitcnt lgkmcnt(1)
	v_mov_b32_e32 v2, 0
	v_mov_b32_e32 v4, 0
	;; [unrolled: 1-line block ×3, first 2 shown]
	s_and_saveexec_b64 s[0:1], vcc
	s_cbranch_execz .LBB30_572
; %bb.571:
	v_lshlrev_b32_e32 v1, 2, v0
	global_load_dword v2, v1, s[4:5]
	s_abs_i32 s2, s39
	v_cvt_f32_u32_e32 v1, s2
	s_waitcnt lgkmcnt(0)
	v_add_u32_e32 v3, s12, v0
	v_sub_u32_e32 v6, 0, v3
	s_sub_i32 s3, 0, s2
	v_rcp_iflag_f32_e32 v1, v1
	v_ashrrev_i32_e32 v5, 31, v3
	v_max_i32_e32 v3, v3, v6
	v_mul_f32_e32 v1, 0x4f7ffffe, v1
	v_cvt_u32_f32_e32 v1, v1
	v_mul_lo_u32 v6, s3, v1
	v_mul_hi_u32 v6, v1, v6
	v_add_u32_e32 v1, v1, v6
	v_mul_hi_u32 v1, v3, v1
	v_mul_lo_u32 v1, v1, s2
	v_sub_u32_e32 v1, v3, v1
	v_subrev_u32_e32 v3, s2, v1
	v_cmp_le_u32_e32 vcc, s2, v1
	v_cndmask_b32_e32 v1, v1, v3, vcc
	v_subrev_u32_e32 v3, s2, v1
	v_cmp_le_u32_e32 vcc, s2, v1
	v_cndmask_b32_e32 v1, v1, v3, vcc
	v_xor_b32_e32 v1, v1, v5
	v_sub_u32_e32 v1, v1, v5
	v_cmp_gt_i32_e32 vcc, s38, v1
	v_cndmask_b32_e64 v6, 0, 1, vcc
.LBB30_572:
	s_or_b64 exec, exec, s[0:1]
	s_waitcnt lgkmcnt(0)
	v_or_b32_e32 v3, 0x100, v0
	v_cmp_gt_u32_e32 vcc, s8, v3
	v_mov_b32_e32 v1, 0
	s_and_saveexec_b64 s[2:3], vcc
	s_cbranch_execz .LBB30_574
; %bb.573:
	v_lshlrev_b32_e32 v1, 2, v0
	global_load_dword v4, v1, s[4:5] offset:1024
	s_abs_i32 s4, s39
	v_cvt_f32_u32_e32 v1, s4
	v_add_u32_e32 v3, s12, v3
	v_sub_u32_e32 v7, 0, v3
	s_sub_i32 s0, 0, s4
	v_rcp_iflag_f32_e32 v1, v1
	v_ashrrev_i32_e32 v5, 31, v3
	v_max_i32_e32 v3, v3, v7
	v_mul_f32_e32 v1, 0x4f7ffffe, v1
	v_cvt_u32_f32_e32 v1, v1
	v_mul_lo_u32 v7, s0, v1
	v_mul_hi_u32 v7, v1, v7
	v_add_u32_e32 v1, v1, v7
	v_mul_hi_u32 v1, v3, v1
	v_mul_lo_u32 v1, v1, s4
	v_sub_u32_e32 v1, v3, v1
	v_subrev_u32_e32 v3, s4, v1
	v_cmp_le_u32_e64 s[0:1], s4, v1
	v_cndmask_b32_e64 v1, v1, v3, s[0:1]
	v_subrev_u32_e32 v3, s4, v1
	v_cmp_le_u32_e64 s[0:1], s4, v1
	v_cndmask_b32_e64 v1, v1, v3, s[0:1]
	v_xor_b32_e32 v1, v1, v5
	v_sub_u32_e32 v1, v1, v5
	v_cmp_gt_i32_e64 s[0:1], s38, v1
	v_cndmask_b32_e64 v1, 0, 1, s[0:1]
.LBB30_574:
	s_or_b64 exec, exec, s[2:3]
	s_waitcnt vmcnt(0)
	v_mov_b32_e32 v3, v2
	s_and_saveexec_b64 s[0:1], vcc
	s_cbranch_execz .LBB30_580
; %bb.575:
	v_and_b32_e32 v5, 1, v6
	v_cmp_eq_u32_e32 vcc, 1, v5
	v_mov_b32_e32 v5, v4
	s_and_saveexec_b64 s[2:3], vcc
	s_cbranch_execz .LBB30_579
; %bb.576:
	v_and_b32_e32 v1, 1, v1
	v_cmp_eq_u32_e32 vcc, 1, v1
	s_and_saveexec_b64 s[4:5], vcc
; %bb.577:
	v_cmp_lt_f32_e32 vcc, v2, v4
	v_cndmask_b32_e32 v3, v2, v4, vcc
	v_cmp_lt_f32_e32 vcc, v4, v2
	v_cndmask_b32_e32 v2, v2, v4, vcc
	v_mov_b32_e32 v6, 1
; %bb.578:
	s_or_b64 exec, exec, s[4:5]
	v_pk_mov_b32 v[4:5], v[2:3], v[2:3] op_sel:[0,1]
	v_mov_b32_e32 v1, v6
.LBB30_579:
	s_or_b64 exec, exec, s[2:3]
	v_mov_b32_e32 v6, v1
	v_pk_mov_b32 v[2:3], v[4:5], v[4:5] op_sel:[0,1]
.LBB30_580:
	s_or_b64 exec, exec, s[0:1]
	v_mbcnt_lo_u32_b32 v1, -1, 0
	v_mbcnt_hi_u32_b32 v1, -1, v1
	v_and_b32_e32 v8, 63, v1
	s_min_u32 s8, s8, 0x100
	v_and_b32_e32 v4, 0xc0, v0
	v_cmp_ne_u32_e32 vcc, 63, v8
	v_sub_u32_e64 v7, s8, v4 clamp
	v_addc_co_u32_e32 v4, vcc, 0, v1, vcc
	v_and_b32_e32 v9, 0xffff, v6
	v_lshlrev_b32_e32 v5, 2, v4
	ds_bpermute_b32 v12, v5, v9
	ds_bpermute_b32 v4, v5, v2
	;; [unrolled: 1-line block ×3, first 2 shown]
	v_add_u32_e32 v10, 1, v8
	v_cmp_lt_u32_e32 vcc, v10, v7
	v_mov_b32_e32 v10, v2
	v_mov_b32_e32 v11, v3
	s_and_saveexec_b64 s[0:1], vcc
	s_cbranch_execz .LBB30_586
; %bb.581:
	v_and_b32_e32 v9, 1, v6
	v_cmp_eq_u32_e32 vcc, 1, v9
	s_and_saveexec_b64 s[2:3], vcc
	s_cbranch_execz .LBB30_585
; %bb.582:
	s_waitcnt lgkmcnt(2)
	v_and_b32_e32 v9, 1, v12
	v_cmp_eq_u32_e32 vcc, 1, v9
	s_and_saveexec_b64 s[4:5], vcc
	s_cbranch_execz .LBB30_584
; %bb.583:
	s_waitcnt lgkmcnt(0)
	v_cmp_lt_f32_e32 vcc, v3, v5
	v_cndmask_b32_e32 v3, v3, v5, vcc
	v_cmp_gt_f32_e32 vcc, v2, v4
	v_cndmask_b32_e32 v2, v2, v4, vcc
	v_mov_b32_e32 v6, 1
.LBB30_584:
	s_or_b64 exec, exec, s[4:5]
	v_mov_b32_e32 v12, v6
	s_waitcnt lgkmcnt(0)
	v_pk_mov_b32 v[4:5], v[2:3], v[2:3] op_sel:[0,1]
.LBB30_585:
	s_or_b64 exec, exec, s[2:3]
	s_waitcnt lgkmcnt(2)
	v_and_b32_e32 v9, 0xff, v12
	s_waitcnt lgkmcnt(0)
	v_pk_mov_b32 v[2:3], v[4:5], v[4:5] op_sel:[0,1]
	v_mov_b32_e32 v6, v12
	v_mov_b32_e32 v10, v4
	;; [unrolled: 1-line block ×3, first 2 shown]
.LBB30_586:
	s_or_b64 exec, exec, s[0:1]
	v_cmp_gt_u32_e32 vcc, 62, v8
	s_waitcnt lgkmcnt(1)
	v_cndmask_b32_e64 v4, 0, 1, vcc
	v_lshlrev_b32_e32 v4, 1, v4
	s_waitcnt lgkmcnt(0)
	v_add_lshl_u32 v5, v4, v1, 2
	ds_bpermute_b32 v12, v5, v9
	ds_bpermute_b32 v4, v5, v10
	;; [unrolled: 1-line block ×3, first 2 shown]
	v_add_u32_e32 v13, 2, v8
	v_cmp_lt_u32_e32 vcc, v13, v7
	s_and_saveexec_b64 s[0:1], vcc
	s_cbranch_execz .LBB30_592
; %bb.587:
	v_and_b32_e32 v9, 1, v6
	v_cmp_eq_u32_e32 vcc, 1, v9
	s_and_saveexec_b64 s[2:3], vcc
	s_cbranch_execz .LBB30_591
; %bb.588:
	s_waitcnt lgkmcnt(2)
	v_and_b32_e32 v9, 1, v12
	v_cmp_eq_u32_e32 vcc, 1, v9
	s_and_saveexec_b64 s[4:5], vcc
	s_cbranch_execz .LBB30_590
; %bb.589:
	s_waitcnt lgkmcnt(0)
	v_cmp_lt_f32_e32 vcc, v3, v5
	v_cndmask_b32_e32 v3, v3, v5, vcc
	v_cmp_lt_f32_e32 vcc, v4, v2
	v_cndmask_b32_e32 v2, v2, v4, vcc
	v_mov_b32_e32 v6, 1
.LBB30_590:
	s_or_b64 exec, exec, s[4:5]
	v_mov_b32_e32 v12, v6
	s_waitcnt lgkmcnt(0)
	v_pk_mov_b32 v[4:5], v[2:3], v[2:3] op_sel:[0,1]
.LBB30_591:
	s_or_b64 exec, exec, s[2:3]
	s_waitcnt lgkmcnt(2)
	v_and_b32_e32 v9, 0xff, v12
	s_waitcnt lgkmcnt(0)
	v_pk_mov_b32 v[2:3], v[4:5], v[4:5] op_sel:[0,1]
	v_mov_b32_e32 v6, v12
	v_mov_b32_e32 v10, v4
	;; [unrolled: 1-line block ×3, first 2 shown]
.LBB30_592:
	s_or_b64 exec, exec, s[0:1]
	v_cmp_gt_u32_e32 vcc, 60, v8
	s_waitcnt lgkmcnt(1)
	v_cndmask_b32_e64 v4, 0, 1, vcc
	v_lshlrev_b32_e32 v4, 2, v4
	s_waitcnt lgkmcnt(0)
	v_add_lshl_u32 v5, v4, v1, 2
	ds_bpermute_b32 v12, v5, v9
	ds_bpermute_b32 v4, v5, v10
	;; [unrolled: 1-line block ×3, first 2 shown]
	v_add_u32_e32 v13, 4, v8
	v_cmp_lt_u32_e32 vcc, v13, v7
	s_and_saveexec_b64 s[0:1], vcc
	s_cbranch_execz .LBB30_598
; %bb.593:
	v_and_b32_e32 v9, 1, v6
	v_cmp_eq_u32_e32 vcc, 1, v9
	s_and_saveexec_b64 s[2:3], vcc
	s_cbranch_execz .LBB30_597
; %bb.594:
	s_waitcnt lgkmcnt(2)
	v_and_b32_e32 v9, 1, v12
	v_cmp_eq_u32_e32 vcc, 1, v9
	s_and_saveexec_b64 s[4:5], vcc
	s_cbranch_execz .LBB30_596
; %bb.595:
	s_waitcnt lgkmcnt(0)
	v_cmp_lt_f32_e32 vcc, v3, v5
	v_cndmask_b32_e32 v3, v3, v5, vcc
	v_cmp_lt_f32_e32 vcc, v4, v2
	v_cndmask_b32_e32 v2, v2, v4, vcc
	v_mov_b32_e32 v6, 1
.LBB30_596:
	s_or_b64 exec, exec, s[4:5]
	v_mov_b32_e32 v12, v6
	s_waitcnt lgkmcnt(0)
	v_pk_mov_b32 v[4:5], v[2:3], v[2:3] op_sel:[0,1]
.LBB30_597:
	s_or_b64 exec, exec, s[2:3]
	s_waitcnt lgkmcnt(2)
	v_and_b32_e32 v9, 0xff, v12
	s_waitcnt lgkmcnt(0)
	v_pk_mov_b32 v[2:3], v[4:5], v[4:5] op_sel:[0,1]
	v_mov_b32_e32 v6, v12
	v_mov_b32_e32 v10, v4
	v_mov_b32_e32 v11, v5
.LBB30_598:
	s_or_b64 exec, exec, s[0:1]
	v_cmp_gt_u32_e32 vcc, 56, v8
	s_waitcnt lgkmcnt(1)
	v_cndmask_b32_e64 v4, 0, 1, vcc
	v_lshlrev_b32_e32 v4, 3, v4
	s_waitcnt lgkmcnt(0)
	v_add_lshl_u32 v5, v4, v1, 2
	ds_bpermute_b32 v12, v5, v9
	ds_bpermute_b32 v4, v5, v10
	;; [unrolled: 1-line block ×3, first 2 shown]
	v_add_u32_e32 v13, 8, v8
	v_cmp_lt_u32_e32 vcc, v13, v7
	s_and_saveexec_b64 s[0:1], vcc
	s_cbranch_execz .LBB30_604
; %bb.599:
	v_and_b32_e32 v9, 1, v6
	v_cmp_eq_u32_e32 vcc, 1, v9
	s_and_saveexec_b64 s[2:3], vcc
	s_cbranch_execz .LBB30_603
; %bb.600:
	s_waitcnt lgkmcnt(2)
	v_and_b32_e32 v9, 1, v12
	v_cmp_eq_u32_e32 vcc, 1, v9
	s_and_saveexec_b64 s[4:5], vcc
	s_cbranch_execz .LBB30_602
; %bb.601:
	s_waitcnt lgkmcnt(0)
	v_cmp_gt_f32_e32 vcc, v5, v3
	v_cndmask_b32_e32 v3, v3, v5, vcc
	v_cmp_gt_f32_e32 vcc, v2, v4
	v_cndmask_b32_e32 v2, v2, v4, vcc
	v_mov_b32_e32 v6, 1
.LBB30_602:
	s_or_b64 exec, exec, s[4:5]
	v_mov_b32_e32 v12, v6
	s_waitcnt lgkmcnt(0)
	v_pk_mov_b32 v[4:5], v[2:3], v[2:3] op_sel:[0,1]
.LBB30_603:
	s_or_b64 exec, exec, s[2:3]
	s_waitcnt lgkmcnt(2)
	v_and_b32_e32 v9, 0xff, v12
	s_waitcnt lgkmcnt(0)
	v_pk_mov_b32 v[2:3], v[4:5], v[4:5] op_sel:[0,1]
	v_mov_b32_e32 v6, v12
	v_mov_b32_e32 v10, v4
	;; [unrolled: 1-line block ×3, first 2 shown]
.LBB30_604:
	s_or_b64 exec, exec, s[0:1]
	v_cmp_gt_u32_e32 vcc, 48, v8
	s_waitcnt lgkmcnt(1)
	v_cndmask_b32_e64 v4, 0, 1, vcc
	v_lshlrev_b32_e32 v4, 4, v4
	s_waitcnt lgkmcnt(0)
	v_add_lshl_u32 v5, v4, v1, 2
	ds_bpermute_b32 v12, v5, v9
	ds_bpermute_b32 v4, v5, v10
	;; [unrolled: 1-line block ×3, first 2 shown]
	v_add_u32_e32 v13, 16, v8
	v_cmp_lt_u32_e32 vcc, v13, v7
	s_and_saveexec_b64 s[0:1], vcc
	s_cbranch_execz .LBB30_610
; %bb.605:
	v_and_b32_e32 v9, 1, v6
	v_cmp_eq_u32_e32 vcc, 1, v9
	s_and_saveexec_b64 s[2:3], vcc
	s_cbranch_execz .LBB30_609
; %bb.606:
	s_waitcnt lgkmcnt(2)
	v_and_b32_e32 v9, 1, v12
	v_cmp_eq_u32_e32 vcc, 1, v9
	s_and_saveexec_b64 s[4:5], vcc
	s_cbranch_execz .LBB30_608
; %bb.607:
	s_waitcnt lgkmcnt(0)
	v_cmp_gt_f32_e32 vcc, v5, v3
	v_cndmask_b32_e32 v3, v3, v5, vcc
	v_cmp_gt_f32_e32 vcc, v2, v4
	v_cndmask_b32_e32 v2, v2, v4, vcc
	v_mov_b32_e32 v6, 1
.LBB30_608:
	s_or_b64 exec, exec, s[4:5]
	v_mov_b32_e32 v12, v6
	s_waitcnt lgkmcnt(0)
	v_pk_mov_b32 v[4:5], v[2:3], v[2:3] op_sel:[0,1]
.LBB30_609:
	s_or_b64 exec, exec, s[2:3]
	s_waitcnt lgkmcnt(2)
	v_and_b32_e32 v9, 0xff, v12
	s_waitcnt lgkmcnt(0)
	v_pk_mov_b32 v[2:3], v[4:5], v[4:5] op_sel:[0,1]
	v_mov_b32_e32 v6, v12
	v_mov_b32_e32 v10, v4
	;; [unrolled: 1-line block ×3, first 2 shown]
.LBB30_610:
	s_or_b64 exec, exec, s[0:1]
	v_cmp_gt_u32_e32 vcc, 32, v8
	s_waitcnt lgkmcnt(1)
	v_cndmask_b32_e64 v4, 0, 1, vcc
	v_lshlrev_b32_e32 v4, 5, v4
	s_waitcnt lgkmcnt(0)
	v_add_lshl_u32 v5, v4, v1, 2
	ds_bpermute_b32 v12, v5, v9
	ds_bpermute_b32 v4, v5, v10
	;; [unrolled: 1-line block ×3, first 2 shown]
	v_add_u32_e32 v8, 32, v8
	v_cmp_lt_u32_e32 vcc, v8, v7
	s_and_saveexec_b64 s[0:1], vcc
	s_cbranch_execz .LBB30_616
; %bb.611:
	v_and_b32_e32 v7, 1, v6
	v_cmp_eq_u32_e32 vcc, 1, v7
	s_and_saveexec_b64 s[2:3], vcc
	s_cbranch_execz .LBB30_615
; %bb.612:
	s_waitcnt lgkmcnt(2)
	v_and_b32_e32 v7, 1, v12
	v_cmp_eq_u32_e32 vcc, 1, v7
	s_and_saveexec_b64 s[4:5], vcc
	s_cbranch_execz .LBB30_614
; %bb.613:
	s_waitcnt lgkmcnt(0)
	v_cmp_gt_f32_e32 vcc, v5, v3
	v_cndmask_b32_e32 v3, v3, v5, vcc
	v_cmp_gt_f32_e32 vcc, v2, v4
	v_cndmask_b32_e32 v2, v2, v4, vcc
	v_mov_b32_e32 v6, 1
.LBB30_614:
	s_or_b64 exec, exec, s[4:5]
	v_mov_b32_e32 v12, v6
	s_waitcnt lgkmcnt(0)
	v_pk_mov_b32 v[4:5], v[2:3], v[2:3] op_sel:[0,1]
.LBB30_615:
	s_or_b64 exec, exec, s[2:3]
	s_waitcnt lgkmcnt(2)
	v_and_b32_e32 v9, 0xff, v12
	s_waitcnt lgkmcnt(0)
	v_pk_mov_b32 v[2:3], v[4:5], v[4:5] op_sel:[0,1]
	v_mov_b32_e32 v6, v12
.LBB30_616:
	s_or_b64 exec, exec, s[0:1]
	v_cmp_eq_u32_e32 vcc, 0, v1
	s_and_saveexec_b64 s[0:1], vcc
	s_cbranch_execz .LBB30_618
; %bb.617:
	s_waitcnt lgkmcnt(1)
	v_lshrrev_b32_e32 v4, 6, v0
	v_mul_u32_u24_e32 v4, 12, v4
	ds_write_b8 v4, v6
	ds_write2_b32 v4, v2, v3 offset0:1 offset1:2
.LBB30_618:
	s_or_b64 exec, exec, s[0:1]
	v_cmp_gt_u32_e32 vcc, 4, v0
	s_waitcnt lgkmcnt(0)
	s_barrier
	s_and_saveexec_b64 s[0:1], vcc
	s_cbranch_execz .LBB30_632
; %bb.619:
	v_mul_u32_u24_e32 v2, 12, v1
	ds_read_u8 v6, v2
	ds_read2_b32 v[2:3], v2 offset0:1 offset1:2
	v_and_b32_e32 v7, 3, v1
	v_cmp_ne_u32_e32 vcc, 3, v7
	v_addc_co_u32_e32 v4, vcc, 0, v1, vcc
	s_waitcnt lgkmcnt(1)
	v_and_b32_e32 v9, 0xff, v6
	v_lshlrev_b32_e32 v5, 2, v4
	ds_bpermute_b32 v8, v5, v9
	s_waitcnt lgkmcnt(1)
	ds_bpermute_b32 v4, v5, v2
	ds_bpermute_b32 v5, v5, v3
	s_add_i32 s8, s8, 63
	s_lshr_b32 s10, s8, 6
	v_add_u32_e32 v10, 1, v7
	v_cmp_gt_u32_e32 vcc, s10, v10
	v_mov_b32_e32 v10, v2
	v_mov_b32_e32 v11, v3
	s_and_saveexec_b64 s[2:3], vcc
	s_cbranch_execz .LBB30_625
; %bb.620:
	v_and_b32_e32 v9, 1, v6
	v_cmp_eq_u32_e32 vcc, 1, v9
	s_and_saveexec_b64 s[4:5], vcc
	s_cbranch_execz .LBB30_624
; %bb.621:
	s_waitcnt lgkmcnt(2)
	v_and_b32_e32 v8, 1, v8
	v_cmp_eq_u32_e32 vcc, 1, v8
	s_and_saveexec_b64 s[8:9], vcc
	s_cbranch_execz .LBB30_623
; %bb.622:
	s_waitcnt lgkmcnt(0)
	v_cmp_gt_f32_e32 vcc, v5, v3
	v_cndmask_b32_e32 v3, v3, v5, vcc
	v_cmp_gt_f32_e32 vcc, v2, v4
	v_cndmask_b32_e32 v2, v2, v4, vcc
	v_mov_b32_e32 v6, 1
.LBB30_623:
	s_or_b64 exec, exec, s[8:9]
	v_mov_b32_e32 v8, v6
	s_waitcnt lgkmcnt(0)
	v_pk_mov_b32 v[4:5], v[2:3], v[2:3] op_sel:[0,1]
.LBB30_624:
	s_or_b64 exec, exec, s[4:5]
	s_waitcnt lgkmcnt(2)
	v_and_b32_e32 v9, 0xff, v8
	s_waitcnt lgkmcnt(0)
	v_pk_mov_b32 v[2:3], v[4:5], v[4:5] op_sel:[0,1]
	v_mov_b32_e32 v6, v8
	v_mov_b32_e32 v10, v4
	;; [unrolled: 1-line block ×3, first 2 shown]
.LBB30_625:
	s_or_b64 exec, exec, s[2:3]
	v_cmp_gt_u32_e32 vcc, 2, v7
	s_waitcnt lgkmcnt(1)
	v_cndmask_b32_e64 v4, 0, 1, vcc
	v_lshlrev_b32_e32 v4, 1, v4
	s_waitcnt lgkmcnt(0)
	v_add_lshl_u32 v5, v4, v1, 2
	ds_bpermute_b32 v1, v5, v9
	ds_bpermute_b32 v4, v5, v10
	;; [unrolled: 1-line block ×3, first 2 shown]
	v_add_u32_e32 v7, 2, v7
	v_cmp_gt_u32_e32 vcc, s10, v7
	s_and_saveexec_b64 s[2:3], vcc
	s_cbranch_execz .LBB30_631
; %bb.626:
	v_and_b32_e32 v7, 1, v6
	v_cmp_eq_u32_e32 vcc, 1, v7
	s_and_saveexec_b64 s[4:5], vcc
	s_cbranch_execz .LBB30_630
; %bb.627:
	s_waitcnt lgkmcnt(2)
	v_and_b32_e32 v1, 1, v1
	v_cmp_eq_u32_e32 vcc, 1, v1
	s_and_saveexec_b64 s[8:9], vcc
	s_cbranch_execz .LBB30_629
; %bb.628:
	s_waitcnt lgkmcnt(0)
	v_cmp_gt_f32_e32 vcc, v5, v3
	v_cndmask_b32_e32 v3, v3, v5, vcc
	v_cmp_gt_f32_e32 vcc, v2, v4
	v_cndmask_b32_e32 v2, v2, v4, vcc
	v_mov_b32_e32 v6, 1
.LBB30_629:
	s_or_b64 exec, exec, s[8:9]
	v_mov_b32_e32 v1, v6
	s_waitcnt lgkmcnt(0)
	v_pk_mov_b32 v[4:5], v[2:3], v[2:3] op_sel:[0,1]
.LBB30_630:
	s_or_b64 exec, exec, s[4:5]
	s_waitcnt lgkmcnt(2)
	v_and_b32_e32 v9, 0xff, v1
	s_waitcnt lgkmcnt(0)
	v_pk_mov_b32 v[2:3], v[4:5], v[4:5] op_sel:[0,1]
.LBB30_631:
	s_or_b64 exec, exec, s[2:3]
.LBB30_632:
	s_or_b64 exec, exec, s[0:1]
.LBB30_633:
	v_cmp_eq_u32_e32 vcc, 0, v0
                                        ; implicit-def: $vgpr4_vgpr5
                                        ; implicit-def: $vgpr1
	s_and_saveexec_b64 s[0:1], vcc
	s_xor_b64 s[4:5], exec, s[0:1]
	s_cbranch_execz .LBB30_639
; %bb.634:
	s_cmp_eq_u64 s[40:41], 0
	s_waitcnt lgkmcnt(0)
	v_pk_mov_b32 v[4:5], s[44:45], s[44:45] op_sel:[0,1]
	v_mov_b32_e32 v1, s33
	s_cbranch_scc1 .LBB30_638
; %bb.635:
	s_bitcmp0_b32 s33, 0
	s_cbranch_scc1 .LBB30_637
; %bb.636:
	v_and_b32_e32 v1, 1, v9
	v_cmp_lt_f32_e32 vcc, s45, v3
	v_cmp_eq_u32_e64 s[2:3], 1, v1
	v_cmp_gt_f32_e64 s[0:1], s44, v2
	v_mov_b32_e32 v1, s45
	s_and_b64 vcc, s[2:3], vcc
	v_mov_b32_e32 v4, s33
	v_cndmask_b32_e32 v3, v1, v3, vcc
	v_mov_b32_e32 v1, s44
	s_and_b64 vcc, s[2:3], s[0:1]
	v_cndmask_b32_e64 v9, v4, 1, s[2:3]
	v_cndmask_b32_e32 v2, v1, v2, vcc
.LBB30_637:
	v_pk_mov_b32 v[4:5], v[2:3], v[2:3] op_sel:[0,1]
	v_mov_b32_e32 v1, v9
.LBB30_638:
	s_or_b64 s[18:19], s[18:19], exec
.LBB30_639:
	s_or_b64 exec, exec, s[4:5]
	s_branch .LBB30_680
.LBB30_640:
	s_cmp_eq_u32 s46, 1
	s_cbranch_scc0 .LBB30_679
; %bb.641:
	s_mov_b32 s3, 0
	s_lshl_b32 s2, s6, 8
	s_mov_b32 s7, s3
	s_lshr_b64 s[0:1], s[40:41], 8
	s_cmp_lg_u64 s[0:1], s[6:7]
	s_cbranch_scc0 .LBB30_683
; %bb.642:
	s_lshl_b64 s[0:1], s[2:3], 2
	s_add_u32 s0, s36, s0
	s_addc_u32 s1, s37, s1
	s_waitcnt lgkmcnt(2)
	v_lshlrev_b32_e32 v1, 2, v0
	s_waitcnt lgkmcnt(1)
	global_load_dword v2, v1, s[0:1]
	s_abs_i32 s0, s39
	v_cvt_f32_u32_e32 v1, s0
	s_add_i32 s1, s47, s2
	s_waitcnt lgkmcnt(0)
	v_add_u32_e32 v3, s1, v0
	s_sub_i32 s1, 0, s0
	v_rcp_iflag_f32_e32 v1, v1
	v_sub_u32_e32 v5, 0, v3
	v_ashrrev_i32_e32 v4, 31, v3
	v_max_i32_e32 v3, v3, v5
	v_mul_f32_e32 v1, 0x4f7ffffe, v1
	v_cvt_u32_f32_e32 v1, v1
	v_mul_lo_u32 v5, s1, v1
	v_mul_hi_u32 v5, v1, v5
	v_add_u32_e32 v1, v1, v5
	v_mul_hi_u32 v1, v3, v1
	v_mul_lo_u32 v1, v1, s0
	v_sub_u32_e32 v1, v3, v1
	v_subrev_u32_e32 v3, s0, v1
	v_cmp_le_u32_e32 vcc, s0, v1
	v_cndmask_b32_e32 v1, v1, v3, vcc
	v_subrev_u32_e32 v3, s0, v1
	v_cmp_le_u32_e32 vcc, s0, v1
	v_cndmask_b32_e32 v1, v1, v3, vcc
	v_xor_b32_e32 v1, v1, v4
	v_sub_u32_e32 v1, v1, v4
	v_cmp_gt_i32_e32 vcc, s38, v1
	v_cndmask_b32_e64 v3, 0, 1, vcc
	v_cndmask_b32_e64 v1, 0, 1, vcc
	s_waitcnt vmcnt(0)
	v_mov_b32_dpp v4, v2 quad_perm:[1,0,3,2] row_mask:0xf bank_mask:0xf bound_ctrl:1
	v_mov_b32_dpp v6, v3 quad_perm:[1,0,3,2] row_mask:0xf bank_mask:0xf bound_ctrl:1
	v_and_b32_e32 v3, 1, v6
	v_cmp_eq_u32_e64 s[0:1], 1, v3
	v_mov_b32_e32 v3, v2
	s_and_saveexec_b64 s[4:5], s[0:1]
	s_cbranch_execz .LBB30_646
; %bb.643:
	v_mov_b32_e32 v5, v4
	s_and_saveexec_b64 s[0:1], vcc
; %bb.644:
	v_cmp_gt_f32_e32 vcc, v2, v4
	v_cndmask_b32_e32 v5, v4, v2, vcc
	v_cmp_lt_f32_e32 vcc, v2, v4
	v_cndmask_b32_e32 v4, v4, v2, vcc
	v_mov_b32_e32 v6, 1
; %bb.645:
	s_or_b64 exec, exec, s[0:1]
	v_mov_b32_e32 v1, v6
	v_pk_mov_b32 v[2:3], v[4:5], v[4:5] op_sel:[0,1]
.LBB30_646:
	s_or_b64 exec, exec, s[4:5]
	v_and_b32_e32 v4, 0xff, v1
	v_mov_b32_dpp v5, v3 quad_perm:[2,3,0,1] row_mask:0xf bank_mask:0xf bound_ctrl:1
	s_nop 0
	v_mov_b32_dpp v6, v4 quad_perm:[2,3,0,1] row_mask:0xf bank_mask:0xf bound_ctrl:1
	v_and_b32_e32 v7, 1, v6
	v_mov_b32_dpp v4, v2 quad_perm:[2,3,0,1] row_mask:0xf bank_mask:0xf bound_ctrl:1
	v_cmp_eq_u32_e32 vcc, 1, v7
	s_and_saveexec_b64 s[0:1], vcc
	s_cbranch_execz .LBB30_650
; %bb.647:
	v_and_b32_e32 v1, 1, v1
	v_cmp_eq_u32_e32 vcc, 1, v1
	s_and_saveexec_b64 s[4:5], vcc
; %bb.648:
	v_cmp_lt_f32_e32 vcc, v5, v3
	v_cndmask_b32_e32 v5, v5, v3, vcc
	v_cmp_lt_f32_e32 vcc, v2, v4
	v_cndmask_b32_e32 v4, v4, v2, vcc
	v_mov_b32_e32 v6, 1
; %bb.649:
	s_or_b64 exec, exec, s[4:5]
	v_mov_b32_e32 v1, v6
	v_pk_mov_b32 v[2:3], v[4:5], v[4:5] op_sel:[0,1]
.LBB30_650:
	s_or_b64 exec, exec, s[0:1]
	v_and_b32_e32 v4, 0xff, v1
	v_mov_b32_dpp v5, v3 row_ror:4 row_mask:0xf bank_mask:0xf bound_ctrl:1
	s_nop 0
	v_mov_b32_dpp v6, v4 row_ror:4 row_mask:0xf bank_mask:0xf bound_ctrl:1
	v_and_b32_e32 v7, 1, v6
	v_mov_b32_dpp v4, v2 row_ror:4 row_mask:0xf bank_mask:0xf bound_ctrl:1
	v_cmp_eq_u32_e32 vcc, 1, v7
	s_and_saveexec_b64 s[0:1], vcc
	s_cbranch_execz .LBB30_654
; %bb.651:
	v_and_b32_e32 v1, 1, v1
	v_cmp_eq_u32_e32 vcc, 1, v1
	s_and_saveexec_b64 s[4:5], vcc
; %bb.652:
	v_cmp_lt_f32_e32 vcc, v5, v3
	v_cndmask_b32_e32 v5, v5, v3, vcc
	v_cmp_lt_f32_e32 vcc, v2, v4
	v_cndmask_b32_e32 v4, v4, v2, vcc
	v_mov_b32_e32 v6, 1
; %bb.653:
	s_or_b64 exec, exec, s[4:5]
	v_mov_b32_e32 v1, v6
	v_pk_mov_b32 v[2:3], v[4:5], v[4:5] op_sel:[0,1]
.LBB30_654:
	s_or_b64 exec, exec, s[0:1]
	v_and_b32_e32 v4, 0xff, v1
	v_mov_b32_dpp v5, v3 row_ror:8 row_mask:0xf bank_mask:0xf bound_ctrl:1
	s_nop 0
	v_mov_b32_dpp v6, v4 row_ror:8 row_mask:0xf bank_mask:0xf bound_ctrl:1
	v_and_b32_e32 v7, 1, v6
	v_mov_b32_dpp v4, v2 row_ror:8 row_mask:0xf bank_mask:0xf bound_ctrl:1
	v_cmp_eq_u32_e32 vcc, 1, v7
	s_and_saveexec_b64 s[0:1], vcc
	s_cbranch_execz .LBB30_658
; %bb.655:
	v_and_b32_e32 v1, 1, v1
	v_cmp_eq_u32_e32 vcc, 1, v1
	s_and_saveexec_b64 s[4:5], vcc
; %bb.656:
	v_cmp_lt_f32_e32 vcc, v5, v3
	v_cndmask_b32_e32 v5, v5, v3, vcc
	v_cmp_lt_f32_e32 vcc, v2, v4
	v_cndmask_b32_e32 v4, v4, v2, vcc
	v_mov_b32_e32 v6, 1
; %bb.657:
	s_or_b64 exec, exec, s[4:5]
	v_mov_b32_e32 v1, v6
	v_pk_mov_b32 v[2:3], v[4:5], v[4:5] op_sel:[0,1]
.LBB30_658:
	s_or_b64 exec, exec, s[0:1]
	v_and_b32_e32 v4, 0xff, v1
	v_mov_b32_dpp v5, v3 row_bcast:15 row_mask:0xf bank_mask:0xf bound_ctrl:1
	s_nop 0
	v_mov_b32_dpp v6, v4 row_bcast:15 row_mask:0xf bank_mask:0xf bound_ctrl:1
	v_and_b32_e32 v7, 1, v6
	v_mov_b32_dpp v4, v2 row_bcast:15 row_mask:0xf bank_mask:0xf bound_ctrl:1
	v_cmp_eq_u32_e32 vcc, 1, v7
	s_and_saveexec_b64 s[0:1], vcc
	s_cbranch_execz .LBB30_662
; %bb.659:
	v_and_b32_e32 v1, 1, v1
	v_cmp_eq_u32_e32 vcc, 1, v1
	s_and_saveexec_b64 s[4:5], vcc
; %bb.660:
	v_cmp_lt_f32_e32 vcc, v5, v3
	v_cndmask_b32_e32 v5, v5, v3, vcc
	v_cmp_lt_f32_e32 vcc, v2, v4
	v_cndmask_b32_e32 v4, v4, v2, vcc
	v_mov_b32_e32 v6, 1
; %bb.661:
	s_or_b64 exec, exec, s[4:5]
	v_mov_b32_e32 v1, v6
	v_pk_mov_b32 v[2:3], v[4:5], v[4:5] op_sel:[0,1]
.LBB30_662:
	s_or_b64 exec, exec, s[0:1]
	v_and_b32_e32 v4, 0xff, v1
	v_mov_b32_dpp v5, v3 row_bcast:31 row_mask:0xf bank_mask:0xf bound_ctrl:1
	s_nop 0
	v_mov_b32_dpp v6, v4 row_bcast:31 row_mask:0xf bank_mask:0xf bound_ctrl:1
	v_and_b32_e32 v7, 1, v6
	v_mov_b32_dpp v4, v2 row_bcast:31 row_mask:0xf bank_mask:0xf bound_ctrl:1
	v_cmp_eq_u32_e32 vcc, 1, v7
	s_and_saveexec_b64 s[0:1], vcc
	s_cbranch_execz .LBB30_666
; %bb.663:
	v_and_b32_e32 v1, 1, v1
	v_cmp_eq_u32_e32 vcc, 1, v1
	s_and_saveexec_b64 s[4:5], vcc
; %bb.664:
	v_cmp_lt_f32_e32 vcc, v5, v3
	v_cndmask_b32_e32 v5, v5, v3, vcc
	v_cmp_lt_f32_e32 vcc, v2, v4
	v_cndmask_b32_e32 v4, v4, v2, vcc
	v_mov_b32_e32 v6, 1
; %bb.665:
	s_or_b64 exec, exec, s[4:5]
	v_mov_b32_e32 v1, v6
	v_pk_mov_b32 v[2:3], v[4:5], v[4:5] op_sel:[0,1]
.LBB30_666:
	s_or_b64 exec, exec, s[0:1]
	v_mbcnt_lo_u32_b32 v4, -1, 0
	v_mbcnt_hi_u32_b32 v7, -1, v4
	v_bfrev_b32_e32 v4, 0.5
	v_and_b32_e32 v1, 0xff, v1
	v_lshl_or_b32 v4, v7, 2, v4
	ds_bpermute_b32 v6, v4, v1
	ds_bpermute_b32 v2, v4, v2
	;; [unrolled: 1-line block ×3, first 2 shown]
	v_cmp_eq_u32_e32 vcc, 0, v7
	s_and_saveexec_b64 s[0:1], vcc
	s_cbranch_execz .LBB30_668
; %bb.667:
	v_lshrrev_b32_e32 v1, 6, v0
	v_mul_u32_u24_e32 v1, 12, v1
	s_waitcnt lgkmcnt(2)
	ds_write_b8 v1, v6 offset:96
	s_waitcnt lgkmcnt(1)
	ds_write2_b32 v1, v2, v3 offset0:25 offset1:26
.LBB30_668:
	s_or_b64 exec, exec, s[0:1]
	v_cmp_gt_u32_e32 vcc, 64, v0
	s_waitcnt lgkmcnt(0)
	s_barrier
	s_and_saveexec_b64 s[0:1], vcc
	s_cbranch_execz .LBB30_678
; %bb.669:
	v_and_b32_e32 v6, 3, v7
	v_mul_u32_u24_e32 v1, 12, v6
	ds_read_u8 v8, v1 offset:96
	ds_read2_b32 v[2:3], v1 offset0:25 offset1:26
	v_cmp_ne_u32_e32 vcc, 3, v6
	v_addc_co_u32_e32 v1, vcc, 0, v7, vcc
	s_waitcnt lgkmcnt(1)
	v_and_b32_e32 v4, 0xff, v8
	v_lshlrev_b32_e32 v5, 2, v1
	ds_bpermute_b32 v1, v5, v4
	s_waitcnt lgkmcnt(1)
	ds_bpermute_b32 v4, v5, v2
	ds_bpermute_b32 v5, v5, v3
	v_and_b32_e32 v9, 1, v8
	v_cmp_eq_u32_e32 vcc, 1, v9
	s_and_saveexec_b64 s[4:5], vcc
	s_cbranch_execz .LBB30_673
; %bb.670:
	s_waitcnt lgkmcnt(2)
	v_and_b32_e32 v1, 1, v1
	v_cmp_eq_u32_e32 vcc, 1, v1
	s_and_saveexec_b64 s[8:9], vcc
	s_cbranch_execz .LBB30_672
; %bb.671:
	s_waitcnt lgkmcnt(0)
	v_cmp_gt_f32_e32 vcc, v5, v3
	v_cndmask_b32_e32 v3, v3, v5, vcc
	v_cmp_gt_f32_e32 vcc, v2, v4
	v_cndmask_b32_e32 v2, v2, v4, vcc
	v_mov_b32_e32 v8, 1
.LBB30_672:
	s_or_b64 exec, exec, s[8:9]
	v_mov_b32_e32 v1, v8
	s_waitcnt lgkmcnt(0)
	v_pk_mov_b32 v[4:5], v[2:3], v[2:3] op_sel:[0,1]
.LBB30_673:
	s_or_b64 exec, exec, s[4:5]
	v_cmp_gt_u32_e32 vcc, 2, v6
	v_cndmask_b32_e64 v3, 0, 1, vcc
	v_lshlrev_b32_e32 v3, 1, v3
	s_waitcnt lgkmcnt(2)
	v_and_b32_e32 v2, 0xff, v1
	v_add_lshl_u32 v3, v3, v7, 2
	ds_bpermute_b32 v6, v3, v2
	s_waitcnt lgkmcnt(2)
	ds_bpermute_b32 v2, v3, v4
	s_waitcnt lgkmcnt(2)
	ds_bpermute_b32 v3, v3, v5
	v_and_b32_e32 v7, 1, v1
	v_cmp_eq_u32_e32 vcc, 1, v7
	s_and_saveexec_b64 s[4:5], vcc
	s_cbranch_execz .LBB30_677
; %bb.674:
	s_waitcnt lgkmcnt(2)
	v_and_b32_e32 v6, 1, v6
	v_cmp_eq_u32_e32 vcc, 1, v6
	s_and_saveexec_b64 s[8:9], vcc
	s_cbranch_execz .LBB30_676
; %bb.675:
	s_waitcnt lgkmcnt(0)
	v_cmp_gt_f32_e32 vcc, v3, v5
	v_cndmask_b32_e32 v5, v5, v3, vcc
	v_cmp_gt_f32_e32 vcc, v4, v2
	v_cndmask_b32_e32 v4, v4, v2, vcc
	v_mov_b32_e32 v1, 1
.LBB30_676:
	s_or_b64 exec, exec, s[8:9]
	v_mov_b32_e32 v6, v1
	s_waitcnt lgkmcnt(0)
	v_pk_mov_b32 v[2:3], v[4:5], v[4:5] op_sel:[0,1]
.LBB30_677:
	s_or_b64 exec, exec, s[4:5]
	s_waitcnt lgkmcnt(2)
	v_and_b32_e32 v6, 0xff, v6
.LBB30_678:
	s_or_b64 exec, exec, s[0:1]
	s_branch .LBB30_739
.LBB30_679:
                                        ; implicit-def: $vgpr4_vgpr5
                                        ; implicit-def: $vgpr1
                                        ; implicit-def: $sgpr6_sgpr7
.LBB30_680:
	s_and_saveexec_b64 s[0:1], s[18:19]
	s_cbranch_execz .LBB30_682
.LBB30_681:
	s_mul_i32 s0, s7, 12
	s_mul_hi_u32 s1, s6, 12
	s_add_i32 s1, s1, s0
	s_mul_i32 s0, s6, 12
	s_add_u32 s0, s42, s0
	s_addc_u32 s1, s43, s1
	v_mov_b32_e32 v0, 0
	s_waitcnt lgkmcnt(2)
	global_store_byte v0, v1, s[0:1]
	s_waitcnt lgkmcnt(0)
	global_store_dwordx2 v0, v[4:5], s[0:1] offset:4
.LBB30_682:
	s_endpgm
.LBB30_683:
                                        ; implicit-def: $vgpr2_vgpr3
                                        ; implicit-def: $vgpr6
	s_cbranch_execz .LBB30_739
; %bb.684:
	s_sub_i32 s4, s40, s2
	v_cmp_gt_u32_e32 vcc, s4, v0
	s_waitcnt lgkmcnt(1)
	v_mov_b32_e32 v2, 0
	v_mov_b32_e32 v9, 0
	s_and_saveexec_b64 s[0:1], vcc
	s_cbranch_execz .LBB30_686
; %bb.685:
	s_lshl_b64 s[8:9], s[2:3], 2
	s_add_u32 s8, s36, s8
	s_addc_u32 s9, s37, s9
	v_lshlrev_b32_e32 v1, 2, v0
	global_load_dword v2, v1, s[8:9]
	s_abs_i32 s3, s39
	v_cvt_f32_u32_e32 v1, s3
	s_add_i32 s2, s47, s2
	s_waitcnt lgkmcnt(0)
	v_add_u32_e32 v3, s2, v0
	v_sub_u32_e32 v5, 0, v3
	v_rcp_iflag_f32_e32 v1, v1
	s_sub_i32 s2, 0, s3
	v_ashrrev_i32_e32 v4, 31, v3
	v_max_i32_e32 v3, v3, v5
	v_mul_f32_e32 v1, 0x4f7ffffe, v1
	v_cvt_u32_f32_e32 v1, v1
	v_mul_lo_u32 v5, s2, v1
	v_mul_hi_u32 v5, v1, v5
	v_add_u32_e32 v1, v1, v5
	v_mul_hi_u32 v1, v3, v1
	v_mul_lo_u32 v1, v1, s3
	v_sub_u32_e32 v1, v3, v1
	v_subrev_u32_e32 v3, s3, v1
	v_cmp_le_u32_e32 vcc, s3, v1
	v_cndmask_b32_e32 v1, v1, v3, vcc
	v_subrev_u32_e32 v3, s3, v1
	v_cmp_le_u32_e32 vcc, s3, v1
	v_cndmask_b32_e32 v1, v1, v3, vcc
	v_xor_b32_e32 v1, v1, v4
	v_sub_u32_e32 v1, v1, v4
	v_cmp_gt_i32_e32 vcc, s38, v1
	v_cndmask_b32_e64 v9, 0, 1, vcc
.LBB30_686:
	s_or_b64 exec, exec, s[0:1]
	v_mbcnt_lo_u32_b32 v1, -1, 0
	v_mbcnt_hi_u32_b32 v1, -1, v1
	v_and_b32_e32 v7, 63, v1
	v_cmp_ne_u32_e32 vcc, 63, v7
	v_addc_co_u32_e32 v4, vcc, 0, v1, vcc
	v_and_b32_e32 v6, 0xffff, v9
	v_lshlrev_b32_e32 v4, 2, v4
	ds_bpermute_b32 v10, v4, v6
	s_waitcnt vmcnt(0)
	ds_bpermute_b32 v4, v4, v2
	s_min_u32 s8, s4, 0x100
	s_waitcnt lgkmcnt(2)
	v_and_b32_e32 v3, 0xc0, v0
	v_sub_u32_e64 v8, s8, v3 clamp
	v_add_u32_e32 v3, 1, v7
	v_cmp_lt_u32_e32 vcc, v3, v8
	v_mov_b32_e32 v3, v2
	s_and_saveexec_b64 s[0:1], vcc
	s_cbranch_execz .LBB30_692
; %bb.687:
	v_and_b32_e32 v5, 1, v9
	v_cmp_eq_u32_e32 vcc, 1, v5
	s_waitcnt lgkmcnt(0)
	v_mov_b32_e32 v5, v4
	s_and_saveexec_b64 s[2:3], vcc
	s_cbranch_execz .LBB30_691
; %bb.688:
	v_and_b32_e32 v5, 1, v10
	v_cmp_eq_u32_e32 vcc, 1, v5
	s_and_saveexec_b64 s[4:5], vcc
; %bb.689:
	v_cmp_lt_f32_e32 vcc, v2, v4
	v_cndmask_b32_e32 v3, v3, v4, vcc
	v_cmp_gt_f32_e32 vcc, v2, v4
	v_cndmask_b32_e32 v2, v2, v4, vcc
	v_mov_b32_e32 v9, 1
; %bb.690:
	s_or_b64 exec, exec, s[4:5]
	v_mov_b32_e32 v10, v9
	v_pk_mov_b32 v[4:5], v[2:3], v[2:3] op_sel:[0,1]
.LBB30_691:
	s_or_b64 exec, exec, s[2:3]
	v_and_b32_e32 v6, 0xff, v10
	v_pk_mov_b32 v[2:3], v[4:5], v[4:5] op_sel:[0,1]
	v_mov_b32_e32 v9, v10
.LBB30_692:
	s_or_b64 exec, exec, s[0:1]
	v_cmp_gt_u32_e32 vcc, 62, v7
	s_waitcnt lgkmcnt(0)
	v_cndmask_b32_e64 v4, 0, 1, vcc
	v_lshlrev_b32_e32 v4, 1, v4
	v_add_lshl_u32 v5, v4, v1, 2
	ds_bpermute_b32 v12, v5, v6
	ds_bpermute_b32 v4, v5, v2
	ds_bpermute_b32 v5, v5, v3
	v_add_u32_e32 v10, 2, v7
	v_cmp_lt_u32_e32 vcc, v10, v8
	v_mov_b32_e32 v10, v2
	v_mov_b32_e32 v11, v3
	s_and_saveexec_b64 s[0:1], vcc
	s_cbranch_execz .LBB30_698
; %bb.693:
	v_and_b32_e32 v6, 1, v9
	v_cmp_eq_u32_e32 vcc, 1, v6
	s_and_saveexec_b64 s[2:3], vcc
	s_cbranch_execz .LBB30_697
; %bb.694:
	s_waitcnt lgkmcnt(2)
	v_and_b32_e32 v6, 1, v12
	v_cmp_eq_u32_e32 vcc, 1, v6
	s_and_saveexec_b64 s[4:5], vcc
	s_cbranch_execz .LBB30_696
; %bb.695:
	s_waitcnt lgkmcnt(0)
	v_cmp_lt_f32_e32 vcc, v3, v5
	v_cndmask_b32_e32 v3, v3, v5, vcc
	v_cmp_lt_f32_e32 vcc, v4, v2
	v_cndmask_b32_e32 v2, v2, v4, vcc
	v_mov_b32_e32 v9, 1
.LBB30_696:
	s_or_b64 exec, exec, s[4:5]
	v_mov_b32_e32 v12, v9
	s_waitcnt lgkmcnt(0)
	v_pk_mov_b32 v[4:5], v[2:3], v[2:3] op_sel:[0,1]
.LBB30_697:
	s_or_b64 exec, exec, s[2:3]
	s_waitcnt lgkmcnt(2)
	v_and_b32_e32 v6, 0xff, v12
	s_waitcnt lgkmcnt(0)
	v_pk_mov_b32 v[2:3], v[4:5], v[4:5] op_sel:[0,1]
	v_mov_b32_e32 v9, v12
	v_mov_b32_e32 v10, v4
	;; [unrolled: 1-line block ×3, first 2 shown]
.LBB30_698:
	s_or_b64 exec, exec, s[0:1]
	v_cmp_gt_u32_e32 vcc, 60, v7
	s_waitcnt lgkmcnt(1)
	v_cndmask_b32_e64 v4, 0, 1, vcc
	v_lshlrev_b32_e32 v4, 2, v4
	s_waitcnt lgkmcnt(0)
	v_add_lshl_u32 v5, v4, v1, 2
	ds_bpermute_b32 v12, v5, v6
	ds_bpermute_b32 v4, v5, v10
	ds_bpermute_b32 v5, v5, v11
	v_add_u32_e32 v13, 4, v7
	v_cmp_lt_u32_e32 vcc, v13, v8
	s_and_saveexec_b64 s[0:1], vcc
	s_cbranch_execz .LBB30_704
; %bb.699:
	v_and_b32_e32 v6, 1, v9
	v_cmp_eq_u32_e32 vcc, 1, v6
	s_and_saveexec_b64 s[2:3], vcc
	s_cbranch_execz .LBB30_703
; %bb.700:
	s_waitcnt lgkmcnt(2)
	v_and_b32_e32 v6, 1, v12
	v_cmp_eq_u32_e32 vcc, 1, v6
	s_and_saveexec_b64 s[4:5], vcc
	s_cbranch_execz .LBB30_702
; %bb.701:
	s_waitcnt lgkmcnt(0)
	v_cmp_lt_f32_e32 vcc, v3, v5
	v_cndmask_b32_e32 v3, v3, v5, vcc
	v_cmp_lt_f32_e32 vcc, v4, v2
	v_cndmask_b32_e32 v2, v2, v4, vcc
	v_mov_b32_e32 v9, 1
.LBB30_702:
	s_or_b64 exec, exec, s[4:5]
	v_mov_b32_e32 v12, v9
	s_waitcnt lgkmcnt(0)
	v_pk_mov_b32 v[4:5], v[2:3], v[2:3] op_sel:[0,1]
.LBB30_703:
	s_or_b64 exec, exec, s[2:3]
	s_waitcnt lgkmcnt(2)
	v_and_b32_e32 v6, 0xff, v12
	s_waitcnt lgkmcnt(0)
	v_pk_mov_b32 v[2:3], v[4:5], v[4:5] op_sel:[0,1]
	v_mov_b32_e32 v9, v12
	v_mov_b32_e32 v10, v4
	;; [unrolled: 1-line block ×3, first 2 shown]
.LBB30_704:
	s_or_b64 exec, exec, s[0:1]
	v_cmp_gt_u32_e32 vcc, 56, v7
	s_waitcnt lgkmcnt(1)
	v_cndmask_b32_e64 v4, 0, 1, vcc
	v_lshlrev_b32_e32 v4, 3, v4
	s_waitcnt lgkmcnt(0)
	v_add_lshl_u32 v5, v4, v1, 2
	ds_bpermute_b32 v12, v5, v6
	ds_bpermute_b32 v4, v5, v10
	;; [unrolled: 1-line block ×3, first 2 shown]
	v_add_u32_e32 v13, 8, v7
	v_cmp_lt_u32_e32 vcc, v13, v8
	s_and_saveexec_b64 s[0:1], vcc
	s_cbranch_execz .LBB30_710
; %bb.705:
	v_and_b32_e32 v6, 1, v9
	v_cmp_eq_u32_e32 vcc, 1, v6
	s_and_saveexec_b64 s[2:3], vcc
	s_cbranch_execz .LBB30_709
; %bb.706:
	s_waitcnt lgkmcnt(2)
	v_and_b32_e32 v6, 1, v12
	v_cmp_eq_u32_e32 vcc, 1, v6
	s_and_saveexec_b64 s[4:5], vcc
	s_cbranch_execz .LBB30_708
; %bb.707:
	s_waitcnt lgkmcnt(0)
	v_cmp_gt_f32_e32 vcc, v5, v3
	v_cndmask_b32_e32 v3, v3, v5, vcc
	v_cmp_gt_f32_e32 vcc, v2, v4
	v_cndmask_b32_e32 v2, v2, v4, vcc
	v_mov_b32_e32 v9, 1
.LBB30_708:
	s_or_b64 exec, exec, s[4:5]
	v_mov_b32_e32 v12, v9
	s_waitcnt lgkmcnt(0)
	v_pk_mov_b32 v[4:5], v[2:3], v[2:3] op_sel:[0,1]
.LBB30_709:
	s_or_b64 exec, exec, s[2:3]
	s_waitcnt lgkmcnt(2)
	v_and_b32_e32 v6, 0xff, v12
	s_waitcnt lgkmcnt(0)
	v_pk_mov_b32 v[2:3], v[4:5], v[4:5] op_sel:[0,1]
	v_mov_b32_e32 v9, v12
	v_mov_b32_e32 v10, v4
	v_mov_b32_e32 v11, v5
.LBB30_710:
	s_or_b64 exec, exec, s[0:1]
	v_cmp_gt_u32_e32 vcc, 48, v7
	s_waitcnt lgkmcnt(1)
	v_cndmask_b32_e64 v4, 0, 1, vcc
	v_lshlrev_b32_e32 v4, 4, v4
	s_waitcnt lgkmcnt(0)
	v_add_lshl_u32 v5, v4, v1, 2
	ds_bpermute_b32 v12, v5, v6
	ds_bpermute_b32 v4, v5, v10
	;; [unrolled: 1-line block ×3, first 2 shown]
	v_add_u32_e32 v13, 16, v7
	v_cmp_lt_u32_e32 vcc, v13, v8
	s_and_saveexec_b64 s[0:1], vcc
	s_cbranch_execz .LBB30_716
; %bb.711:
	v_and_b32_e32 v6, 1, v9
	v_cmp_eq_u32_e32 vcc, 1, v6
	s_and_saveexec_b64 s[2:3], vcc
	s_cbranch_execz .LBB30_715
; %bb.712:
	s_waitcnt lgkmcnt(2)
	v_and_b32_e32 v6, 1, v12
	v_cmp_eq_u32_e32 vcc, 1, v6
	s_and_saveexec_b64 s[4:5], vcc
	s_cbranch_execz .LBB30_714
; %bb.713:
	s_waitcnt lgkmcnt(0)
	v_cmp_gt_f32_e32 vcc, v5, v3
	v_cndmask_b32_e32 v3, v3, v5, vcc
	v_cmp_gt_f32_e32 vcc, v2, v4
	v_cndmask_b32_e32 v2, v2, v4, vcc
	v_mov_b32_e32 v9, 1
.LBB30_714:
	s_or_b64 exec, exec, s[4:5]
	v_mov_b32_e32 v12, v9
	s_waitcnt lgkmcnt(0)
	v_pk_mov_b32 v[4:5], v[2:3], v[2:3] op_sel:[0,1]
.LBB30_715:
	s_or_b64 exec, exec, s[2:3]
	s_waitcnt lgkmcnt(2)
	v_and_b32_e32 v6, 0xff, v12
	s_waitcnt lgkmcnt(0)
	v_pk_mov_b32 v[2:3], v[4:5], v[4:5] op_sel:[0,1]
	v_mov_b32_e32 v9, v12
	v_mov_b32_e32 v10, v4
	;; [unrolled: 1-line block ×3, first 2 shown]
.LBB30_716:
	s_or_b64 exec, exec, s[0:1]
	v_cmp_gt_u32_e32 vcc, 32, v7
	s_waitcnt lgkmcnt(1)
	v_cndmask_b32_e64 v4, 0, 1, vcc
	v_lshlrev_b32_e32 v4, 5, v4
	s_waitcnt lgkmcnt(0)
	v_add_lshl_u32 v5, v4, v1, 2
	ds_bpermute_b32 v12, v5, v6
	ds_bpermute_b32 v4, v5, v10
	;; [unrolled: 1-line block ×3, first 2 shown]
	v_add_u32_e32 v7, 32, v7
	v_cmp_lt_u32_e32 vcc, v7, v8
	s_and_saveexec_b64 s[0:1], vcc
	s_cbranch_execz .LBB30_722
; %bb.717:
	v_and_b32_e32 v6, 1, v9
	v_cmp_eq_u32_e32 vcc, 1, v6
	s_and_saveexec_b64 s[2:3], vcc
	s_cbranch_execz .LBB30_721
; %bb.718:
	s_waitcnt lgkmcnt(2)
	v_and_b32_e32 v6, 1, v12
	v_cmp_eq_u32_e32 vcc, 1, v6
	s_and_saveexec_b64 s[4:5], vcc
	s_cbranch_execz .LBB30_720
; %bb.719:
	s_waitcnt lgkmcnt(0)
	v_cmp_gt_f32_e32 vcc, v5, v3
	v_cndmask_b32_e32 v3, v3, v5, vcc
	v_cmp_gt_f32_e32 vcc, v2, v4
	v_cndmask_b32_e32 v2, v2, v4, vcc
	v_mov_b32_e32 v9, 1
.LBB30_720:
	s_or_b64 exec, exec, s[4:5]
	v_mov_b32_e32 v12, v9
	s_waitcnt lgkmcnt(0)
	v_pk_mov_b32 v[4:5], v[2:3], v[2:3] op_sel:[0,1]
.LBB30_721:
	s_or_b64 exec, exec, s[2:3]
	s_waitcnt lgkmcnt(2)
	v_and_b32_e32 v6, 0xff, v12
	s_waitcnt lgkmcnt(0)
	v_pk_mov_b32 v[2:3], v[4:5], v[4:5] op_sel:[0,1]
	v_mov_b32_e32 v9, v12
.LBB30_722:
	s_or_b64 exec, exec, s[0:1]
	v_cmp_eq_u32_e32 vcc, 0, v1
	s_and_saveexec_b64 s[0:1], vcc
	s_cbranch_execz .LBB30_724
; %bb.723:
	s_waitcnt lgkmcnt(1)
	v_lshrrev_b32_e32 v4, 6, v0
	v_mul_u32_u24_e32 v4, 12, v4
	ds_write_b8 v4, v9
	ds_write2_b32 v4, v2, v3 offset0:1 offset1:2
.LBB30_724:
	s_or_b64 exec, exec, s[0:1]
	v_cmp_gt_u32_e32 vcc, 4, v0
	s_waitcnt lgkmcnt(0)
	s_barrier
	s_and_saveexec_b64 s[0:1], vcc
	s_cbranch_execz .LBB30_738
; %bb.725:
	v_mul_u32_u24_e32 v2, 12, v1
	ds_read_u8 v7, v2
	ds_read2_b32 v[2:3], v2 offset0:1 offset1:2
	v_and_b32_e32 v8, 3, v1
	v_cmp_ne_u32_e32 vcc, 3, v8
	v_addc_co_u32_e32 v4, vcc, 0, v1, vcc
	s_waitcnt lgkmcnt(1)
	v_and_b32_e32 v6, 0xff, v7
	v_lshlrev_b32_e32 v5, 2, v4
	ds_bpermute_b32 v9, v5, v6
	s_waitcnt lgkmcnt(1)
	ds_bpermute_b32 v4, v5, v2
	ds_bpermute_b32 v5, v5, v3
	s_add_i32 s8, s8, 63
	s_lshr_b32 s10, s8, 6
	v_add_u32_e32 v10, 1, v8
	v_cmp_gt_u32_e32 vcc, s10, v10
	v_mov_b32_e32 v10, v2
	v_mov_b32_e32 v11, v3
	s_and_saveexec_b64 s[2:3], vcc
	s_cbranch_execz .LBB30_731
; %bb.726:
	v_and_b32_e32 v6, 1, v7
	v_cmp_eq_u32_e32 vcc, 1, v6
	s_and_saveexec_b64 s[4:5], vcc
	s_cbranch_execz .LBB30_730
; %bb.727:
	s_waitcnt lgkmcnt(2)
	v_and_b32_e32 v6, 1, v9
	v_cmp_eq_u32_e32 vcc, 1, v6
	s_and_saveexec_b64 s[8:9], vcc
	s_cbranch_execz .LBB30_729
; %bb.728:
	s_waitcnt lgkmcnt(0)
	v_cmp_gt_f32_e32 vcc, v5, v3
	v_cndmask_b32_e32 v3, v3, v5, vcc
	v_cmp_gt_f32_e32 vcc, v2, v4
	v_cndmask_b32_e32 v2, v2, v4, vcc
	v_mov_b32_e32 v7, 1
.LBB30_729:
	s_or_b64 exec, exec, s[8:9]
	v_mov_b32_e32 v9, v7
	s_waitcnt lgkmcnt(0)
	v_pk_mov_b32 v[4:5], v[2:3], v[2:3] op_sel:[0,1]
.LBB30_730:
	s_or_b64 exec, exec, s[4:5]
	s_waitcnt lgkmcnt(2)
	v_and_b32_e32 v6, 0xff, v9
	s_waitcnt lgkmcnt(0)
	v_pk_mov_b32 v[2:3], v[4:5], v[4:5] op_sel:[0,1]
	v_mov_b32_e32 v7, v9
	v_mov_b32_e32 v10, v4
	;; [unrolled: 1-line block ×3, first 2 shown]
.LBB30_731:
	s_or_b64 exec, exec, s[2:3]
	v_cmp_gt_u32_e32 vcc, 2, v8
	s_waitcnt lgkmcnt(1)
	v_cndmask_b32_e64 v4, 0, 1, vcc
	v_lshlrev_b32_e32 v4, 1, v4
	s_waitcnt lgkmcnt(0)
	v_add_lshl_u32 v5, v4, v1, 2
	ds_bpermute_b32 v1, v5, v6
	ds_bpermute_b32 v4, v5, v10
	ds_bpermute_b32 v5, v5, v11
	v_add_u32_e32 v8, 2, v8
	v_cmp_gt_u32_e32 vcc, s10, v8
	s_and_saveexec_b64 s[2:3], vcc
	s_cbranch_execz .LBB30_737
; %bb.732:
	v_and_b32_e32 v6, 1, v7
	v_cmp_eq_u32_e32 vcc, 1, v6
	s_and_saveexec_b64 s[4:5], vcc
	s_cbranch_execz .LBB30_736
; %bb.733:
	s_waitcnt lgkmcnt(2)
	v_and_b32_e32 v1, 1, v1
	v_cmp_eq_u32_e32 vcc, 1, v1
	s_and_saveexec_b64 s[8:9], vcc
	s_cbranch_execz .LBB30_735
; %bb.734:
	s_waitcnt lgkmcnt(0)
	v_cmp_gt_f32_e32 vcc, v5, v3
	v_cndmask_b32_e32 v3, v3, v5, vcc
	v_cmp_gt_f32_e32 vcc, v2, v4
	v_cndmask_b32_e32 v2, v2, v4, vcc
	v_mov_b32_e32 v7, 1
.LBB30_735:
	s_or_b64 exec, exec, s[8:9]
	v_mov_b32_e32 v1, v7
	s_waitcnt lgkmcnt(0)
	v_pk_mov_b32 v[4:5], v[2:3], v[2:3] op_sel:[0,1]
.LBB30_736:
	s_or_b64 exec, exec, s[4:5]
	s_waitcnt lgkmcnt(2)
	v_and_b32_e32 v6, 0xff, v1
	s_waitcnt lgkmcnt(0)
	v_pk_mov_b32 v[2:3], v[4:5], v[4:5] op_sel:[0,1]
.LBB30_737:
	s_or_b64 exec, exec, s[2:3]
.LBB30_738:
	s_or_b64 exec, exec, s[0:1]
.LBB30_739:
	v_cmp_eq_u32_e32 vcc, 0, v0
                                        ; implicit-def: $vgpr4_vgpr5
                                        ; implicit-def: $vgpr1
	s_and_saveexec_b64 s[4:5], vcc
	s_cbranch_execz .LBB30_745
; %bb.740:
	s_cmp_eq_u64 s[40:41], 0
	s_waitcnt lgkmcnt(0)
	v_pk_mov_b32 v[4:5], s[44:45], s[44:45] op_sel:[0,1]
	v_mov_b32_e32 v1, s33
	s_cbranch_scc1 .LBB30_744
; %bb.741:
	s_bitcmp0_b32 s33, 0
	s_cbranch_scc1 .LBB30_743
; %bb.742:
	v_and_b32_e32 v0, 1, v6
	v_cmp_lt_f32_e32 vcc, s45, v3
	v_cmp_eq_u32_e64 s[2:3], 1, v0
	v_cmp_gt_f32_e64 s[0:1], s44, v2
	v_mov_b32_e32 v0, s45
	s_and_b64 vcc, s[2:3], vcc
	v_mov_b32_e32 v1, s33
	v_cndmask_b32_e32 v3, v0, v3, vcc
	v_mov_b32_e32 v0, s44
	s_and_b64 vcc, s[2:3], s[0:1]
	v_cndmask_b32_e64 v6, v1, 1, s[2:3]
	v_cndmask_b32_e32 v2, v0, v2, vcc
.LBB30_743:
	v_pk_mov_b32 v[4:5], v[2:3], v[2:3] op_sel:[0,1]
	v_mov_b32_e32 v1, v6
.LBB30_744:
	s_or_b64 s[18:19], s[18:19], exec
.LBB30_745:
	s_or_b64 exec, exec, s[4:5]
	s_and_saveexec_b64 s[0:1], s[18:19]
	s_cbranch_execnz .LBB30_681
	s_branch .LBB30_682
	.section	.rodata,"a",@progbits
	.p2align	6, 0x0
	.amdhsa_kernel _ZN7rocprim17ROCPRIM_400000_NS6detail17trampoline_kernelINS0_14default_configENS1_22reduce_config_selectorIN6thrust23THRUST_200600_302600_NS5tupleIbffNS6_9null_typeES8_S8_S8_S8_S8_S8_EEEEZNS1_11reduce_implILb1ES3_NS6_11hip_rocprim26transform_input_iterator_tIS9_NS6_12zip_iteratorINS7_INS6_17counting_iteratorIiNS6_11use_defaultESG_SG_EENS6_6detail15normal_iteratorINS6_10device_ptrIfEEEES8_S8_S8_S8_S8_S8_S8_S8_EEEE15transform_tupleIifEEEPS9_S9_12reduce_tupleIifEEE10hipError_tPvRmT1_T2_T3_mT4_P12ihipStream_tbEUlT_E1_NS1_11comp_targetILNS1_3genE4ELNS1_11target_archE910ELNS1_3gpuE8ELNS1_3repE0EEENS1_30default_config_static_selectorELNS0_4arch9wavefront6targetE1EEEvSY_
		.amdhsa_group_segment_fixed_size 288
		.amdhsa_private_segment_fixed_size 0
		.amdhsa_kernarg_size 64
		.amdhsa_user_sgpr_count 6
		.amdhsa_user_sgpr_private_segment_buffer 1
		.amdhsa_user_sgpr_dispatch_ptr 0
		.amdhsa_user_sgpr_queue_ptr 0
		.amdhsa_user_sgpr_kernarg_segment_ptr 1
		.amdhsa_user_sgpr_dispatch_id 0
		.amdhsa_user_sgpr_flat_scratch_init 0
		.amdhsa_user_sgpr_kernarg_preload_length 0
		.amdhsa_user_sgpr_kernarg_preload_offset 0
		.amdhsa_user_sgpr_private_segment_size 0
		.amdhsa_uses_dynamic_stack 0
		.amdhsa_system_sgpr_private_segment_wavefront_offset 0
		.amdhsa_system_sgpr_workgroup_id_x 1
		.amdhsa_system_sgpr_workgroup_id_y 0
		.amdhsa_system_sgpr_workgroup_id_z 0
		.amdhsa_system_sgpr_workgroup_info 0
		.amdhsa_system_vgpr_workitem_id 0
		.amdhsa_next_free_vgpr 70
		.amdhsa_next_free_sgpr 55
		.amdhsa_accum_offset 72
		.amdhsa_reserve_vcc 1
		.amdhsa_reserve_flat_scratch 0
		.amdhsa_float_round_mode_32 0
		.amdhsa_float_round_mode_16_64 0
		.amdhsa_float_denorm_mode_32 3
		.amdhsa_float_denorm_mode_16_64 3
		.amdhsa_dx10_clamp 1
		.amdhsa_ieee_mode 1
		.amdhsa_fp16_overflow 0
		.amdhsa_tg_split 0
		.amdhsa_exception_fp_ieee_invalid_op 0
		.amdhsa_exception_fp_denorm_src 0
		.amdhsa_exception_fp_ieee_div_zero 0
		.amdhsa_exception_fp_ieee_overflow 0
		.amdhsa_exception_fp_ieee_underflow 0
		.amdhsa_exception_fp_ieee_inexact 0
		.amdhsa_exception_int_div_zero 0
	.end_amdhsa_kernel
	.section	.text._ZN7rocprim17ROCPRIM_400000_NS6detail17trampoline_kernelINS0_14default_configENS1_22reduce_config_selectorIN6thrust23THRUST_200600_302600_NS5tupleIbffNS6_9null_typeES8_S8_S8_S8_S8_S8_EEEEZNS1_11reduce_implILb1ES3_NS6_11hip_rocprim26transform_input_iterator_tIS9_NS6_12zip_iteratorINS7_INS6_17counting_iteratorIiNS6_11use_defaultESG_SG_EENS6_6detail15normal_iteratorINS6_10device_ptrIfEEEES8_S8_S8_S8_S8_S8_S8_S8_EEEE15transform_tupleIifEEEPS9_S9_12reduce_tupleIifEEE10hipError_tPvRmT1_T2_T3_mT4_P12ihipStream_tbEUlT_E1_NS1_11comp_targetILNS1_3genE4ELNS1_11target_archE910ELNS1_3gpuE8ELNS1_3repE0EEENS1_30default_config_static_selectorELNS0_4arch9wavefront6targetE1EEEvSY_,"axG",@progbits,_ZN7rocprim17ROCPRIM_400000_NS6detail17trampoline_kernelINS0_14default_configENS1_22reduce_config_selectorIN6thrust23THRUST_200600_302600_NS5tupleIbffNS6_9null_typeES8_S8_S8_S8_S8_S8_EEEEZNS1_11reduce_implILb1ES3_NS6_11hip_rocprim26transform_input_iterator_tIS9_NS6_12zip_iteratorINS7_INS6_17counting_iteratorIiNS6_11use_defaultESG_SG_EENS6_6detail15normal_iteratorINS6_10device_ptrIfEEEES8_S8_S8_S8_S8_S8_S8_S8_EEEE15transform_tupleIifEEEPS9_S9_12reduce_tupleIifEEE10hipError_tPvRmT1_T2_T3_mT4_P12ihipStream_tbEUlT_E1_NS1_11comp_targetILNS1_3genE4ELNS1_11target_archE910ELNS1_3gpuE8ELNS1_3repE0EEENS1_30default_config_static_selectorELNS0_4arch9wavefront6targetE1EEEvSY_,comdat
.Lfunc_end30:
	.size	_ZN7rocprim17ROCPRIM_400000_NS6detail17trampoline_kernelINS0_14default_configENS1_22reduce_config_selectorIN6thrust23THRUST_200600_302600_NS5tupleIbffNS6_9null_typeES8_S8_S8_S8_S8_S8_EEEEZNS1_11reduce_implILb1ES3_NS6_11hip_rocprim26transform_input_iterator_tIS9_NS6_12zip_iteratorINS7_INS6_17counting_iteratorIiNS6_11use_defaultESG_SG_EENS6_6detail15normal_iteratorINS6_10device_ptrIfEEEES8_S8_S8_S8_S8_S8_S8_S8_EEEE15transform_tupleIifEEEPS9_S9_12reduce_tupleIifEEE10hipError_tPvRmT1_T2_T3_mT4_P12ihipStream_tbEUlT_E1_NS1_11comp_targetILNS1_3genE4ELNS1_11target_archE910ELNS1_3gpuE8ELNS1_3repE0EEENS1_30default_config_static_selectorELNS0_4arch9wavefront6targetE1EEEvSY_, .Lfunc_end30-_ZN7rocprim17ROCPRIM_400000_NS6detail17trampoline_kernelINS0_14default_configENS1_22reduce_config_selectorIN6thrust23THRUST_200600_302600_NS5tupleIbffNS6_9null_typeES8_S8_S8_S8_S8_S8_EEEEZNS1_11reduce_implILb1ES3_NS6_11hip_rocprim26transform_input_iterator_tIS9_NS6_12zip_iteratorINS7_INS6_17counting_iteratorIiNS6_11use_defaultESG_SG_EENS6_6detail15normal_iteratorINS6_10device_ptrIfEEEES8_S8_S8_S8_S8_S8_S8_S8_EEEE15transform_tupleIifEEEPS9_S9_12reduce_tupleIifEEE10hipError_tPvRmT1_T2_T3_mT4_P12ihipStream_tbEUlT_E1_NS1_11comp_targetILNS1_3genE4ELNS1_11target_archE910ELNS1_3gpuE8ELNS1_3repE0EEENS1_30default_config_static_selectorELNS0_4arch9wavefront6targetE1EEEvSY_
                                        ; -- End function
	.section	.AMDGPU.csdata,"",@progbits
; Kernel info:
; codeLenInByte = 29596
; NumSgprs: 59
; NumVgprs: 70
; NumAgprs: 0
; TotalNumVgprs: 70
; ScratchSize: 0
; MemoryBound: 0
; FloatMode: 240
; IeeeMode: 1
; LDSByteSize: 288 bytes/workgroup (compile time only)
; SGPRBlocks: 7
; VGPRBlocks: 8
; NumSGPRsForWavesPerEU: 59
; NumVGPRsForWavesPerEU: 70
; AccumOffset: 72
; Occupancy: 7
; WaveLimiterHint : 1
; COMPUTE_PGM_RSRC2:SCRATCH_EN: 0
; COMPUTE_PGM_RSRC2:USER_SGPR: 6
; COMPUTE_PGM_RSRC2:TRAP_HANDLER: 0
; COMPUTE_PGM_RSRC2:TGID_X_EN: 1
; COMPUTE_PGM_RSRC2:TGID_Y_EN: 0
; COMPUTE_PGM_RSRC2:TGID_Z_EN: 0
; COMPUTE_PGM_RSRC2:TIDIG_COMP_CNT: 0
; COMPUTE_PGM_RSRC3_GFX90A:ACCUM_OFFSET: 17
; COMPUTE_PGM_RSRC3_GFX90A:TG_SPLIT: 0
	.section	.text._ZN7rocprim17ROCPRIM_400000_NS6detail17trampoline_kernelINS0_14default_configENS1_22reduce_config_selectorIN6thrust23THRUST_200600_302600_NS5tupleIbffNS6_9null_typeES8_S8_S8_S8_S8_S8_EEEEZNS1_11reduce_implILb1ES3_NS6_11hip_rocprim26transform_input_iterator_tIS9_NS6_12zip_iteratorINS7_INS6_17counting_iteratorIiNS6_11use_defaultESG_SG_EENS6_6detail15normal_iteratorINS6_10device_ptrIfEEEES8_S8_S8_S8_S8_S8_S8_S8_EEEE15transform_tupleIifEEEPS9_S9_12reduce_tupleIifEEE10hipError_tPvRmT1_T2_T3_mT4_P12ihipStream_tbEUlT_E1_NS1_11comp_targetILNS1_3genE3ELNS1_11target_archE908ELNS1_3gpuE7ELNS1_3repE0EEENS1_30default_config_static_selectorELNS0_4arch9wavefront6targetE1EEEvSY_,"axG",@progbits,_ZN7rocprim17ROCPRIM_400000_NS6detail17trampoline_kernelINS0_14default_configENS1_22reduce_config_selectorIN6thrust23THRUST_200600_302600_NS5tupleIbffNS6_9null_typeES8_S8_S8_S8_S8_S8_EEEEZNS1_11reduce_implILb1ES3_NS6_11hip_rocprim26transform_input_iterator_tIS9_NS6_12zip_iteratorINS7_INS6_17counting_iteratorIiNS6_11use_defaultESG_SG_EENS6_6detail15normal_iteratorINS6_10device_ptrIfEEEES8_S8_S8_S8_S8_S8_S8_S8_EEEE15transform_tupleIifEEEPS9_S9_12reduce_tupleIifEEE10hipError_tPvRmT1_T2_T3_mT4_P12ihipStream_tbEUlT_E1_NS1_11comp_targetILNS1_3genE3ELNS1_11target_archE908ELNS1_3gpuE7ELNS1_3repE0EEENS1_30default_config_static_selectorELNS0_4arch9wavefront6targetE1EEEvSY_,comdat
	.protected	_ZN7rocprim17ROCPRIM_400000_NS6detail17trampoline_kernelINS0_14default_configENS1_22reduce_config_selectorIN6thrust23THRUST_200600_302600_NS5tupleIbffNS6_9null_typeES8_S8_S8_S8_S8_S8_EEEEZNS1_11reduce_implILb1ES3_NS6_11hip_rocprim26transform_input_iterator_tIS9_NS6_12zip_iteratorINS7_INS6_17counting_iteratorIiNS6_11use_defaultESG_SG_EENS6_6detail15normal_iteratorINS6_10device_ptrIfEEEES8_S8_S8_S8_S8_S8_S8_S8_EEEE15transform_tupleIifEEEPS9_S9_12reduce_tupleIifEEE10hipError_tPvRmT1_T2_T3_mT4_P12ihipStream_tbEUlT_E1_NS1_11comp_targetILNS1_3genE3ELNS1_11target_archE908ELNS1_3gpuE7ELNS1_3repE0EEENS1_30default_config_static_selectorELNS0_4arch9wavefront6targetE1EEEvSY_ ; -- Begin function _ZN7rocprim17ROCPRIM_400000_NS6detail17trampoline_kernelINS0_14default_configENS1_22reduce_config_selectorIN6thrust23THRUST_200600_302600_NS5tupleIbffNS6_9null_typeES8_S8_S8_S8_S8_S8_EEEEZNS1_11reduce_implILb1ES3_NS6_11hip_rocprim26transform_input_iterator_tIS9_NS6_12zip_iteratorINS7_INS6_17counting_iteratorIiNS6_11use_defaultESG_SG_EENS6_6detail15normal_iteratorINS6_10device_ptrIfEEEES8_S8_S8_S8_S8_S8_S8_S8_EEEE15transform_tupleIifEEEPS9_S9_12reduce_tupleIifEEE10hipError_tPvRmT1_T2_T3_mT4_P12ihipStream_tbEUlT_E1_NS1_11comp_targetILNS1_3genE3ELNS1_11target_archE908ELNS1_3gpuE7ELNS1_3repE0EEENS1_30default_config_static_selectorELNS0_4arch9wavefront6targetE1EEEvSY_
	.globl	_ZN7rocprim17ROCPRIM_400000_NS6detail17trampoline_kernelINS0_14default_configENS1_22reduce_config_selectorIN6thrust23THRUST_200600_302600_NS5tupleIbffNS6_9null_typeES8_S8_S8_S8_S8_S8_EEEEZNS1_11reduce_implILb1ES3_NS6_11hip_rocprim26transform_input_iterator_tIS9_NS6_12zip_iteratorINS7_INS6_17counting_iteratorIiNS6_11use_defaultESG_SG_EENS6_6detail15normal_iteratorINS6_10device_ptrIfEEEES8_S8_S8_S8_S8_S8_S8_S8_EEEE15transform_tupleIifEEEPS9_S9_12reduce_tupleIifEEE10hipError_tPvRmT1_T2_T3_mT4_P12ihipStream_tbEUlT_E1_NS1_11comp_targetILNS1_3genE3ELNS1_11target_archE908ELNS1_3gpuE7ELNS1_3repE0EEENS1_30default_config_static_selectorELNS0_4arch9wavefront6targetE1EEEvSY_
	.p2align	8
	.type	_ZN7rocprim17ROCPRIM_400000_NS6detail17trampoline_kernelINS0_14default_configENS1_22reduce_config_selectorIN6thrust23THRUST_200600_302600_NS5tupleIbffNS6_9null_typeES8_S8_S8_S8_S8_S8_EEEEZNS1_11reduce_implILb1ES3_NS6_11hip_rocprim26transform_input_iterator_tIS9_NS6_12zip_iteratorINS7_INS6_17counting_iteratorIiNS6_11use_defaultESG_SG_EENS6_6detail15normal_iteratorINS6_10device_ptrIfEEEES8_S8_S8_S8_S8_S8_S8_S8_EEEE15transform_tupleIifEEEPS9_S9_12reduce_tupleIifEEE10hipError_tPvRmT1_T2_T3_mT4_P12ihipStream_tbEUlT_E1_NS1_11comp_targetILNS1_3genE3ELNS1_11target_archE908ELNS1_3gpuE7ELNS1_3repE0EEENS1_30default_config_static_selectorELNS0_4arch9wavefront6targetE1EEEvSY_,@function
_ZN7rocprim17ROCPRIM_400000_NS6detail17trampoline_kernelINS0_14default_configENS1_22reduce_config_selectorIN6thrust23THRUST_200600_302600_NS5tupleIbffNS6_9null_typeES8_S8_S8_S8_S8_S8_EEEEZNS1_11reduce_implILb1ES3_NS6_11hip_rocprim26transform_input_iterator_tIS9_NS6_12zip_iteratorINS7_INS6_17counting_iteratorIiNS6_11use_defaultESG_SG_EENS6_6detail15normal_iteratorINS6_10device_ptrIfEEEES8_S8_S8_S8_S8_S8_S8_S8_EEEE15transform_tupleIifEEEPS9_S9_12reduce_tupleIifEEE10hipError_tPvRmT1_T2_T3_mT4_P12ihipStream_tbEUlT_E1_NS1_11comp_targetILNS1_3genE3ELNS1_11target_archE908ELNS1_3gpuE7ELNS1_3repE0EEENS1_30default_config_static_selectorELNS0_4arch9wavefront6targetE1EEEvSY_: ; @_ZN7rocprim17ROCPRIM_400000_NS6detail17trampoline_kernelINS0_14default_configENS1_22reduce_config_selectorIN6thrust23THRUST_200600_302600_NS5tupleIbffNS6_9null_typeES8_S8_S8_S8_S8_S8_EEEEZNS1_11reduce_implILb1ES3_NS6_11hip_rocprim26transform_input_iterator_tIS9_NS6_12zip_iteratorINS7_INS6_17counting_iteratorIiNS6_11use_defaultESG_SG_EENS6_6detail15normal_iteratorINS6_10device_ptrIfEEEES8_S8_S8_S8_S8_S8_S8_S8_EEEE15transform_tupleIifEEEPS9_S9_12reduce_tupleIifEEE10hipError_tPvRmT1_T2_T3_mT4_P12ihipStream_tbEUlT_E1_NS1_11comp_targetILNS1_3genE3ELNS1_11target_archE908ELNS1_3gpuE7ELNS1_3repE0EEENS1_30default_config_static_selectorELNS0_4arch9wavefront6targetE1EEEvSY_
; %bb.0:
	.section	.rodata,"a",@progbits
	.p2align	6, 0x0
	.amdhsa_kernel _ZN7rocprim17ROCPRIM_400000_NS6detail17trampoline_kernelINS0_14default_configENS1_22reduce_config_selectorIN6thrust23THRUST_200600_302600_NS5tupleIbffNS6_9null_typeES8_S8_S8_S8_S8_S8_EEEEZNS1_11reduce_implILb1ES3_NS6_11hip_rocprim26transform_input_iterator_tIS9_NS6_12zip_iteratorINS7_INS6_17counting_iteratorIiNS6_11use_defaultESG_SG_EENS6_6detail15normal_iteratorINS6_10device_ptrIfEEEES8_S8_S8_S8_S8_S8_S8_S8_EEEE15transform_tupleIifEEEPS9_S9_12reduce_tupleIifEEE10hipError_tPvRmT1_T2_T3_mT4_P12ihipStream_tbEUlT_E1_NS1_11comp_targetILNS1_3genE3ELNS1_11target_archE908ELNS1_3gpuE7ELNS1_3repE0EEENS1_30default_config_static_selectorELNS0_4arch9wavefront6targetE1EEEvSY_
		.amdhsa_group_segment_fixed_size 0
		.amdhsa_private_segment_fixed_size 0
		.amdhsa_kernarg_size 64
		.amdhsa_user_sgpr_count 6
		.amdhsa_user_sgpr_private_segment_buffer 1
		.amdhsa_user_sgpr_dispatch_ptr 0
		.amdhsa_user_sgpr_queue_ptr 0
		.amdhsa_user_sgpr_kernarg_segment_ptr 1
		.amdhsa_user_sgpr_dispatch_id 0
		.amdhsa_user_sgpr_flat_scratch_init 0
		.amdhsa_user_sgpr_kernarg_preload_length 0
		.amdhsa_user_sgpr_kernarg_preload_offset 0
		.amdhsa_user_sgpr_private_segment_size 0
		.amdhsa_uses_dynamic_stack 0
		.amdhsa_system_sgpr_private_segment_wavefront_offset 0
		.amdhsa_system_sgpr_workgroup_id_x 1
		.amdhsa_system_sgpr_workgroup_id_y 0
		.amdhsa_system_sgpr_workgroup_id_z 0
		.amdhsa_system_sgpr_workgroup_info 0
		.amdhsa_system_vgpr_workitem_id 0
		.amdhsa_next_free_vgpr 1
		.amdhsa_next_free_sgpr 0
		.amdhsa_accum_offset 4
		.amdhsa_reserve_vcc 0
		.amdhsa_reserve_flat_scratch 0
		.amdhsa_float_round_mode_32 0
		.amdhsa_float_round_mode_16_64 0
		.amdhsa_float_denorm_mode_32 3
		.amdhsa_float_denorm_mode_16_64 3
		.amdhsa_dx10_clamp 1
		.amdhsa_ieee_mode 1
		.amdhsa_fp16_overflow 0
		.amdhsa_tg_split 0
		.amdhsa_exception_fp_ieee_invalid_op 0
		.amdhsa_exception_fp_denorm_src 0
		.amdhsa_exception_fp_ieee_div_zero 0
		.amdhsa_exception_fp_ieee_overflow 0
		.amdhsa_exception_fp_ieee_underflow 0
		.amdhsa_exception_fp_ieee_inexact 0
		.amdhsa_exception_int_div_zero 0
	.end_amdhsa_kernel
	.section	.text._ZN7rocprim17ROCPRIM_400000_NS6detail17trampoline_kernelINS0_14default_configENS1_22reduce_config_selectorIN6thrust23THRUST_200600_302600_NS5tupleIbffNS6_9null_typeES8_S8_S8_S8_S8_S8_EEEEZNS1_11reduce_implILb1ES3_NS6_11hip_rocprim26transform_input_iterator_tIS9_NS6_12zip_iteratorINS7_INS6_17counting_iteratorIiNS6_11use_defaultESG_SG_EENS6_6detail15normal_iteratorINS6_10device_ptrIfEEEES8_S8_S8_S8_S8_S8_S8_S8_EEEE15transform_tupleIifEEEPS9_S9_12reduce_tupleIifEEE10hipError_tPvRmT1_T2_T3_mT4_P12ihipStream_tbEUlT_E1_NS1_11comp_targetILNS1_3genE3ELNS1_11target_archE908ELNS1_3gpuE7ELNS1_3repE0EEENS1_30default_config_static_selectorELNS0_4arch9wavefront6targetE1EEEvSY_,"axG",@progbits,_ZN7rocprim17ROCPRIM_400000_NS6detail17trampoline_kernelINS0_14default_configENS1_22reduce_config_selectorIN6thrust23THRUST_200600_302600_NS5tupleIbffNS6_9null_typeES8_S8_S8_S8_S8_S8_EEEEZNS1_11reduce_implILb1ES3_NS6_11hip_rocprim26transform_input_iterator_tIS9_NS6_12zip_iteratorINS7_INS6_17counting_iteratorIiNS6_11use_defaultESG_SG_EENS6_6detail15normal_iteratorINS6_10device_ptrIfEEEES8_S8_S8_S8_S8_S8_S8_S8_EEEE15transform_tupleIifEEEPS9_S9_12reduce_tupleIifEEE10hipError_tPvRmT1_T2_T3_mT4_P12ihipStream_tbEUlT_E1_NS1_11comp_targetILNS1_3genE3ELNS1_11target_archE908ELNS1_3gpuE7ELNS1_3repE0EEENS1_30default_config_static_selectorELNS0_4arch9wavefront6targetE1EEEvSY_,comdat
.Lfunc_end31:
	.size	_ZN7rocprim17ROCPRIM_400000_NS6detail17trampoline_kernelINS0_14default_configENS1_22reduce_config_selectorIN6thrust23THRUST_200600_302600_NS5tupleIbffNS6_9null_typeES8_S8_S8_S8_S8_S8_EEEEZNS1_11reduce_implILb1ES3_NS6_11hip_rocprim26transform_input_iterator_tIS9_NS6_12zip_iteratorINS7_INS6_17counting_iteratorIiNS6_11use_defaultESG_SG_EENS6_6detail15normal_iteratorINS6_10device_ptrIfEEEES8_S8_S8_S8_S8_S8_S8_S8_EEEE15transform_tupleIifEEEPS9_S9_12reduce_tupleIifEEE10hipError_tPvRmT1_T2_T3_mT4_P12ihipStream_tbEUlT_E1_NS1_11comp_targetILNS1_3genE3ELNS1_11target_archE908ELNS1_3gpuE7ELNS1_3repE0EEENS1_30default_config_static_selectorELNS0_4arch9wavefront6targetE1EEEvSY_, .Lfunc_end31-_ZN7rocprim17ROCPRIM_400000_NS6detail17trampoline_kernelINS0_14default_configENS1_22reduce_config_selectorIN6thrust23THRUST_200600_302600_NS5tupleIbffNS6_9null_typeES8_S8_S8_S8_S8_S8_EEEEZNS1_11reduce_implILb1ES3_NS6_11hip_rocprim26transform_input_iterator_tIS9_NS6_12zip_iteratorINS7_INS6_17counting_iteratorIiNS6_11use_defaultESG_SG_EENS6_6detail15normal_iteratorINS6_10device_ptrIfEEEES8_S8_S8_S8_S8_S8_S8_S8_EEEE15transform_tupleIifEEEPS9_S9_12reduce_tupleIifEEE10hipError_tPvRmT1_T2_T3_mT4_P12ihipStream_tbEUlT_E1_NS1_11comp_targetILNS1_3genE3ELNS1_11target_archE908ELNS1_3gpuE7ELNS1_3repE0EEENS1_30default_config_static_selectorELNS0_4arch9wavefront6targetE1EEEvSY_
                                        ; -- End function
	.section	.AMDGPU.csdata,"",@progbits
; Kernel info:
; codeLenInByte = 0
; NumSgprs: 4
; NumVgprs: 0
; NumAgprs: 0
; TotalNumVgprs: 0
; ScratchSize: 0
; MemoryBound: 0
; FloatMode: 240
; IeeeMode: 1
; LDSByteSize: 0 bytes/workgroup (compile time only)
; SGPRBlocks: 0
; VGPRBlocks: 0
; NumSGPRsForWavesPerEU: 4
; NumVGPRsForWavesPerEU: 1
; AccumOffset: 4
; Occupancy: 8
; WaveLimiterHint : 0
; COMPUTE_PGM_RSRC2:SCRATCH_EN: 0
; COMPUTE_PGM_RSRC2:USER_SGPR: 6
; COMPUTE_PGM_RSRC2:TRAP_HANDLER: 0
; COMPUTE_PGM_RSRC2:TGID_X_EN: 1
; COMPUTE_PGM_RSRC2:TGID_Y_EN: 0
; COMPUTE_PGM_RSRC2:TGID_Z_EN: 0
; COMPUTE_PGM_RSRC2:TIDIG_COMP_CNT: 0
; COMPUTE_PGM_RSRC3_GFX90A:ACCUM_OFFSET: 0
; COMPUTE_PGM_RSRC3_GFX90A:TG_SPLIT: 0
	.section	.text._ZN7rocprim17ROCPRIM_400000_NS6detail17trampoline_kernelINS0_14default_configENS1_22reduce_config_selectorIN6thrust23THRUST_200600_302600_NS5tupleIbffNS6_9null_typeES8_S8_S8_S8_S8_S8_EEEEZNS1_11reduce_implILb1ES3_NS6_11hip_rocprim26transform_input_iterator_tIS9_NS6_12zip_iteratorINS7_INS6_17counting_iteratorIiNS6_11use_defaultESG_SG_EENS6_6detail15normal_iteratorINS6_10device_ptrIfEEEES8_S8_S8_S8_S8_S8_S8_S8_EEEE15transform_tupleIifEEEPS9_S9_12reduce_tupleIifEEE10hipError_tPvRmT1_T2_T3_mT4_P12ihipStream_tbEUlT_E1_NS1_11comp_targetILNS1_3genE2ELNS1_11target_archE906ELNS1_3gpuE6ELNS1_3repE0EEENS1_30default_config_static_selectorELNS0_4arch9wavefront6targetE1EEEvSY_,"axG",@progbits,_ZN7rocprim17ROCPRIM_400000_NS6detail17trampoline_kernelINS0_14default_configENS1_22reduce_config_selectorIN6thrust23THRUST_200600_302600_NS5tupleIbffNS6_9null_typeES8_S8_S8_S8_S8_S8_EEEEZNS1_11reduce_implILb1ES3_NS6_11hip_rocprim26transform_input_iterator_tIS9_NS6_12zip_iteratorINS7_INS6_17counting_iteratorIiNS6_11use_defaultESG_SG_EENS6_6detail15normal_iteratorINS6_10device_ptrIfEEEES8_S8_S8_S8_S8_S8_S8_S8_EEEE15transform_tupleIifEEEPS9_S9_12reduce_tupleIifEEE10hipError_tPvRmT1_T2_T3_mT4_P12ihipStream_tbEUlT_E1_NS1_11comp_targetILNS1_3genE2ELNS1_11target_archE906ELNS1_3gpuE6ELNS1_3repE0EEENS1_30default_config_static_selectorELNS0_4arch9wavefront6targetE1EEEvSY_,comdat
	.protected	_ZN7rocprim17ROCPRIM_400000_NS6detail17trampoline_kernelINS0_14default_configENS1_22reduce_config_selectorIN6thrust23THRUST_200600_302600_NS5tupleIbffNS6_9null_typeES8_S8_S8_S8_S8_S8_EEEEZNS1_11reduce_implILb1ES3_NS6_11hip_rocprim26transform_input_iterator_tIS9_NS6_12zip_iteratorINS7_INS6_17counting_iteratorIiNS6_11use_defaultESG_SG_EENS6_6detail15normal_iteratorINS6_10device_ptrIfEEEES8_S8_S8_S8_S8_S8_S8_S8_EEEE15transform_tupleIifEEEPS9_S9_12reduce_tupleIifEEE10hipError_tPvRmT1_T2_T3_mT4_P12ihipStream_tbEUlT_E1_NS1_11comp_targetILNS1_3genE2ELNS1_11target_archE906ELNS1_3gpuE6ELNS1_3repE0EEENS1_30default_config_static_selectorELNS0_4arch9wavefront6targetE1EEEvSY_ ; -- Begin function _ZN7rocprim17ROCPRIM_400000_NS6detail17trampoline_kernelINS0_14default_configENS1_22reduce_config_selectorIN6thrust23THRUST_200600_302600_NS5tupleIbffNS6_9null_typeES8_S8_S8_S8_S8_S8_EEEEZNS1_11reduce_implILb1ES3_NS6_11hip_rocprim26transform_input_iterator_tIS9_NS6_12zip_iteratorINS7_INS6_17counting_iteratorIiNS6_11use_defaultESG_SG_EENS6_6detail15normal_iteratorINS6_10device_ptrIfEEEES8_S8_S8_S8_S8_S8_S8_S8_EEEE15transform_tupleIifEEEPS9_S9_12reduce_tupleIifEEE10hipError_tPvRmT1_T2_T3_mT4_P12ihipStream_tbEUlT_E1_NS1_11comp_targetILNS1_3genE2ELNS1_11target_archE906ELNS1_3gpuE6ELNS1_3repE0EEENS1_30default_config_static_selectorELNS0_4arch9wavefront6targetE1EEEvSY_
	.globl	_ZN7rocprim17ROCPRIM_400000_NS6detail17trampoline_kernelINS0_14default_configENS1_22reduce_config_selectorIN6thrust23THRUST_200600_302600_NS5tupleIbffNS6_9null_typeES8_S8_S8_S8_S8_S8_EEEEZNS1_11reduce_implILb1ES3_NS6_11hip_rocprim26transform_input_iterator_tIS9_NS6_12zip_iteratorINS7_INS6_17counting_iteratorIiNS6_11use_defaultESG_SG_EENS6_6detail15normal_iteratorINS6_10device_ptrIfEEEES8_S8_S8_S8_S8_S8_S8_S8_EEEE15transform_tupleIifEEEPS9_S9_12reduce_tupleIifEEE10hipError_tPvRmT1_T2_T3_mT4_P12ihipStream_tbEUlT_E1_NS1_11comp_targetILNS1_3genE2ELNS1_11target_archE906ELNS1_3gpuE6ELNS1_3repE0EEENS1_30default_config_static_selectorELNS0_4arch9wavefront6targetE1EEEvSY_
	.p2align	8
	.type	_ZN7rocprim17ROCPRIM_400000_NS6detail17trampoline_kernelINS0_14default_configENS1_22reduce_config_selectorIN6thrust23THRUST_200600_302600_NS5tupleIbffNS6_9null_typeES8_S8_S8_S8_S8_S8_EEEEZNS1_11reduce_implILb1ES3_NS6_11hip_rocprim26transform_input_iterator_tIS9_NS6_12zip_iteratorINS7_INS6_17counting_iteratorIiNS6_11use_defaultESG_SG_EENS6_6detail15normal_iteratorINS6_10device_ptrIfEEEES8_S8_S8_S8_S8_S8_S8_S8_EEEE15transform_tupleIifEEEPS9_S9_12reduce_tupleIifEEE10hipError_tPvRmT1_T2_T3_mT4_P12ihipStream_tbEUlT_E1_NS1_11comp_targetILNS1_3genE2ELNS1_11target_archE906ELNS1_3gpuE6ELNS1_3repE0EEENS1_30default_config_static_selectorELNS0_4arch9wavefront6targetE1EEEvSY_,@function
_ZN7rocprim17ROCPRIM_400000_NS6detail17trampoline_kernelINS0_14default_configENS1_22reduce_config_selectorIN6thrust23THRUST_200600_302600_NS5tupleIbffNS6_9null_typeES8_S8_S8_S8_S8_S8_EEEEZNS1_11reduce_implILb1ES3_NS6_11hip_rocprim26transform_input_iterator_tIS9_NS6_12zip_iteratorINS7_INS6_17counting_iteratorIiNS6_11use_defaultESG_SG_EENS6_6detail15normal_iteratorINS6_10device_ptrIfEEEES8_S8_S8_S8_S8_S8_S8_S8_EEEE15transform_tupleIifEEEPS9_S9_12reduce_tupleIifEEE10hipError_tPvRmT1_T2_T3_mT4_P12ihipStream_tbEUlT_E1_NS1_11comp_targetILNS1_3genE2ELNS1_11target_archE906ELNS1_3gpuE6ELNS1_3repE0EEENS1_30default_config_static_selectorELNS0_4arch9wavefront6targetE1EEEvSY_: ; @_ZN7rocprim17ROCPRIM_400000_NS6detail17trampoline_kernelINS0_14default_configENS1_22reduce_config_selectorIN6thrust23THRUST_200600_302600_NS5tupleIbffNS6_9null_typeES8_S8_S8_S8_S8_S8_EEEEZNS1_11reduce_implILb1ES3_NS6_11hip_rocprim26transform_input_iterator_tIS9_NS6_12zip_iteratorINS7_INS6_17counting_iteratorIiNS6_11use_defaultESG_SG_EENS6_6detail15normal_iteratorINS6_10device_ptrIfEEEES8_S8_S8_S8_S8_S8_S8_S8_EEEE15transform_tupleIifEEEPS9_S9_12reduce_tupleIifEEE10hipError_tPvRmT1_T2_T3_mT4_P12ihipStream_tbEUlT_E1_NS1_11comp_targetILNS1_3genE2ELNS1_11target_archE906ELNS1_3gpuE6ELNS1_3repE0EEENS1_30default_config_static_selectorELNS0_4arch9wavefront6targetE1EEEvSY_
; %bb.0:
	.section	.rodata,"a",@progbits
	.p2align	6, 0x0
	.amdhsa_kernel _ZN7rocprim17ROCPRIM_400000_NS6detail17trampoline_kernelINS0_14default_configENS1_22reduce_config_selectorIN6thrust23THRUST_200600_302600_NS5tupleIbffNS6_9null_typeES8_S8_S8_S8_S8_S8_EEEEZNS1_11reduce_implILb1ES3_NS6_11hip_rocprim26transform_input_iterator_tIS9_NS6_12zip_iteratorINS7_INS6_17counting_iteratorIiNS6_11use_defaultESG_SG_EENS6_6detail15normal_iteratorINS6_10device_ptrIfEEEES8_S8_S8_S8_S8_S8_S8_S8_EEEE15transform_tupleIifEEEPS9_S9_12reduce_tupleIifEEE10hipError_tPvRmT1_T2_T3_mT4_P12ihipStream_tbEUlT_E1_NS1_11comp_targetILNS1_3genE2ELNS1_11target_archE906ELNS1_3gpuE6ELNS1_3repE0EEENS1_30default_config_static_selectorELNS0_4arch9wavefront6targetE1EEEvSY_
		.amdhsa_group_segment_fixed_size 0
		.amdhsa_private_segment_fixed_size 0
		.amdhsa_kernarg_size 64
		.amdhsa_user_sgpr_count 6
		.amdhsa_user_sgpr_private_segment_buffer 1
		.amdhsa_user_sgpr_dispatch_ptr 0
		.amdhsa_user_sgpr_queue_ptr 0
		.amdhsa_user_sgpr_kernarg_segment_ptr 1
		.amdhsa_user_sgpr_dispatch_id 0
		.amdhsa_user_sgpr_flat_scratch_init 0
		.amdhsa_user_sgpr_kernarg_preload_length 0
		.amdhsa_user_sgpr_kernarg_preload_offset 0
		.amdhsa_user_sgpr_private_segment_size 0
		.amdhsa_uses_dynamic_stack 0
		.amdhsa_system_sgpr_private_segment_wavefront_offset 0
		.amdhsa_system_sgpr_workgroup_id_x 1
		.amdhsa_system_sgpr_workgroup_id_y 0
		.amdhsa_system_sgpr_workgroup_id_z 0
		.amdhsa_system_sgpr_workgroup_info 0
		.amdhsa_system_vgpr_workitem_id 0
		.amdhsa_next_free_vgpr 1
		.amdhsa_next_free_sgpr 0
		.amdhsa_accum_offset 4
		.amdhsa_reserve_vcc 0
		.amdhsa_reserve_flat_scratch 0
		.amdhsa_float_round_mode_32 0
		.amdhsa_float_round_mode_16_64 0
		.amdhsa_float_denorm_mode_32 3
		.amdhsa_float_denorm_mode_16_64 3
		.amdhsa_dx10_clamp 1
		.amdhsa_ieee_mode 1
		.amdhsa_fp16_overflow 0
		.amdhsa_tg_split 0
		.amdhsa_exception_fp_ieee_invalid_op 0
		.amdhsa_exception_fp_denorm_src 0
		.amdhsa_exception_fp_ieee_div_zero 0
		.amdhsa_exception_fp_ieee_overflow 0
		.amdhsa_exception_fp_ieee_underflow 0
		.amdhsa_exception_fp_ieee_inexact 0
		.amdhsa_exception_int_div_zero 0
	.end_amdhsa_kernel
	.section	.text._ZN7rocprim17ROCPRIM_400000_NS6detail17trampoline_kernelINS0_14default_configENS1_22reduce_config_selectorIN6thrust23THRUST_200600_302600_NS5tupleIbffNS6_9null_typeES8_S8_S8_S8_S8_S8_EEEEZNS1_11reduce_implILb1ES3_NS6_11hip_rocprim26transform_input_iterator_tIS9_NS6_12zip_iteratorINS7_INS6_17counting_iteratorIiNS6_11use_defaultESG_SG_EENS6_6detail15normal_iteratorINS6_10device_ptrIfEEEES8_S8_S8_S8_S8_S8_S8_S8_EEEE15transform_tupleIifEEEPS9_S9_12reduce_tupleIifEEE10hipError_tPvRmT1_T2_T3_mT4_P12ihipStream_tbEUlT_E1_NS1_11comp_targetILNS1_3genE2ELNS1_11target_archE906ELNS1_3gpuE6ELNS1_3repE0EEENS1_30default_config_static_selectorELNS0_4arch9wavefront6targetE1EEEvSY_,"axG",@progbits,_ZN7rocprim17ROCPRIM_400000_NS6detail17trampoline_kernelINS0_14default_configENS1_22reduce_config_selectorIN6thrust23THRUST_200600_302600_NS5tupleIbffNS6_9null_typeES8_S8_S8_S8_S8_S8_EEEEZNS1_11reduce_implILb1ES3_NS6_11hip_rocprim26transform_input_iterator_tIS9_NS6_12zip_iteratorINS7_INS6_17counting_iteratorIiNS6_11use_defaultESG_SG_EENS6_6detail15normal_iteratorINS6_10device_ptrIfEEEES8_S8_S8_S8_S8_S8_S8_S8_EEEE15transform_tupleIifEEEPS9_S9_12reduce_tupleIifEEE10hipError_tPvRmT1_T2_T3_mT4_P12ihipStream_tbEUlT_E1_NS1_11comp_targetILNS1_3genE2ELNS1_11target_archE906ELNS1_3gpuE6ELNS1_3repE0EEENS1_30default_config_static_selectorELNS0_4arch9wavefront6targetE1EEEvSY_,comdat
.Lfunc_end32:
	.size	_ZN7rocprim17ROCPRIM_400000_NS6detail17trampoline_kernelINS0_14default_configENS1_22reduce_config_selectorIN6thrust23THRUST_200600_302600_NS5tupleIbffNS6_9null_typeES8_S8_S8_S8_S8_S8_EEEEZNS1_11reduce_implILb1ES3_NS6_11hip_rocprim26transform_input_iterator_tIS9_NS6_12zip_iteratorINS7_INS6_17counting_iteratorIiNS6_11use_defaultESG_SG_EENS6_6detail15normal_iteratorINS6_10device_ptrIfEEEES8_S8_S8_S8_S8_S8_S8_S8_EEEE15transform_tupleIifEEEPS9_S9_12reduce_tupleIifEEE10hipError_tPvRmT1_T2_T3_mT4_P12ihipStream_tbEUlT_E1_NS1_11comp_targetILNS1_3genE2ELNS1_11target_archE906ELNS1_3gpuE6ELNS1_3repE0EEENS1_30default_config_static_selectorELNS0_4arch9wavefront6targetE1EEEvSY_, .Lfunc_end32-_ZN7rocprim17ROCPRIM_400000_NS6detail17trampoline_kernelINS0_14default_configENS1_22reduce_config_selectorIN6thrust23THRUST_200600_302600_NS5tupleIbffNS6_9null_typeES8_S8_S8_S8_S8_S8_EEEEZNS1_11reduce_implILb1ES3_NS6_11hip_rocprim26transform_input_iterator_tIS9_NS6_12zip_iteratorINS7_INS6_17counting_iteratorIiNS6_11use_defaultESG_SG_EENS6_6detail15normal_iteratorINS6_10device_ptrIfEEEES8_S8_S8_S8_S8_S8_S8_S8_EEEE15transform_tupleIifEEEPS9_S9_12reduce_tupleIifEEE10hipError_tPvRmT1_T2_T3_mT4_P12ihipStream_tbEUlT_E1_NS1_11comp_targetILNS1_3genE2ELNS1_11target_archE906ELNS1_3gpuE6ELNS1_3repE0EEENS1_30default_config_static_selectorELNS0_4arch9wavefront6targetE1EEEvSY_
                                        ; -- End function
	.section	.AMDGPU.csdata,"",@progbits
; Kernel info:
; codeLenInByte = 0
; NumSgprs: 4
; NumVgprs: 0
; NumAgprs: 0
; TotalNumVgprs: 0
; ScratchSize: 0
; MemoryBound: 0
; FloatMode: 240
; IeeeMode: 1
; LDSByteSize: 0 bytes/workgroup (compile time only)
; SGPRBlocks: 0
; VGPRBlocks: 0
; NumSGPRsForWavesPerEU: 4
; NumVGPRsForWavesPerEU: 1
; AccumOffset: 4
; Occupancy: 8
; WaveLimiterHint : 0
; COMPUTE_PGM_RSRC2:SCRATCH_EN: 0
; COMPUTE_PGM_RSRC2:USER_SGPR: 6
; COMPUTE_PGM_RSRC2:TRAP_HANDLER: 0
; COMPUTE_PGM_RSRC2:TGID_X_EN: 1
; COMPUTE_PGM_RSRC2:TGID_Y_EN: 0
; COMPUTE_PGM_RSRC2:TGID_Z_EN: 0
; COMPUTE_PGM_RSRC2:TIDIG_COMP_CNT: 0
; COMPUTE_PGM_RSRC3_GFX90A:ACCUM_OFFSET: 0
; COMPUTE_PGM_RSRC3_GFX90A:TG_SPLIT: 0
	.section	.text._ZN7rocprim17ROCPRIM_400000_NS6detail17trampoline_kernelINS0_14default_configENS1_22reduce_config_selectorIN6thrust23THRUST_200600_302600_NS5tupleIbffNS6_9null_typeES8_S8_S8_S8_S8_S8_EEEEZNS1_11reduce_implILb1ES3_NS6_11hip_rocprim26transform_input_iterator_tIS9_NS6_12zip_iteratorINS7_INS6_17counting_iteratorIiNS6_11use_defaultESG_SG_EENS6_6detail15normal_iteratorINS6_10device_ptrIfEEEES8_S8_S8_S8_S8_S8_S8_S8_EEEE15transform_tupleIifEEEPS9_S9_12reduce_tupleIifEEE10hipError_tPvRmT1_T2_T3_mT4_P12ihipStream_tbEUlT_E1_NS1_11comp_targetILNS1_3genE10ELNS1_11target_archE1201ELNS1_3gpuE5ELNS1_3repE0EEENS1_30default_config_static_selectorELNS0_4arch9wavefront6targetE1EEEvSY_,"axG",@progbits,_ZN7rocprim17ROCPRIM_400000_NS6detail17trampoline_kernelINS0_14default_configENS1_22reduce_config_selectorIN6thrust23THRUST_200600_302600_NS5tupleIbffNS6_9null_typeES8_S8_S8_S8_S8_S8_EEEEZNS1_11reduce_implILb1ES3_NS6_11hip_rocprim26transform_input_iterator_tIS9_NS6_12zip_iteratorINS7_INS6_17counting_iteratorIiNS6_11use_defaultESG_SG_EENS6_6detail15normal_iteratorINS6_10device_ptrIfEEEES8_S8_S8_S8_S8_S8_S8_S8_EEEE15transform_tupleIifEEEPS9_S9_12reduce_tupleIifEEE10hipError_tPvRmT1_T2_T3_mT4_P12ihipStream_tbEUlT_E1_NS1_11comp_targetILNS1_3genE10ELNS1_11target_archE1201ELNS1_3gpuE5ELNS1_3repE0EEENS1_30default_config_static_selectorELNS0_4arch9wavefront6targetE1EEEvSY_,comdat
	.protected	_ZN7rocprim17ROCPRIM_400000_NS6detail17trampoline_kernelINS0_14default_configENS1_22reduce_config_selectorIN6thrust23THRUST_200600_302600_NS5tupleIbffNS6_9null_typeES8_S8_S8_S8_S8_S8_EEEEZNS1_11reduce_implILb1ES3_NS6_11hip_rocprim26transform_input_iterator_tIS9_NS6_12zip_iteratorINS7_INS6_17counting_iteratorIiNS6_11use_defaultESG_SG_EENS6_6detail15normal_iteratorINS6_10device_ptrIfEEEES8_S8_S8_S8_S8_S8_S8_S8_EEEE15transform_tupleIifEEEPS9_S9_12reduce_tupleIifEEE10hipError_tPvRmT1_T2_T3_mT4_P12ihipStream_tbEUlT_E1_NS1_11comp_targetILNS1_3genE10ELNS1_11target_archE1201ELNS1_3gpuE5ELNS1_3repE0EEENS1_30default_config_static_selectorELNS0_4arch9wavefront6targetE1EEEvSY_ ; -- Begin function _ZN7rocprim17ROCPRIM_400000_NS6detail17trampoline_kernelINS0_14default_configENS1_22reduce_config_selectorIN6thrust23THRUST_200600_302600_NS5tupleIbffNS6_9null_typeES8_S8_S8_S8_S8_S8_EEEEZNS1_11reduce_implILb1ES3_NS6_11hip_rocprim26transform_input_iterator_tIS9_NS6_12zip_iteratorINS7_INS6_17counting_iteratorIiNS6_11use_defaultESG_SG_EENS6_6detail15normal_iteratorINS6_10device_ptrIfEEEES8_S8_S8_S8_S8_S8_S8_S8_EEEE15transform_tupleIifEEEPS9_S9_12reduce_tupleIifEEE10hipError_tPvRmT1_T2_T3_mT4_P12ihipStream_tbEUlT_E1_NS1_11comp_targetILNS1_3genE10ELNS1_11target_archE1201ELNS1_3gpuE5ELNS1_3repE0EEENS1_30default_config_static_selectorELNS0_4arch9wavefront6targetE1EEEvSY_
	.globl	_ZN7rocprim17ROCPRIM_400000_NS6detail17trampoline_kernelINS0_14default_configENS1_22reduce_config_selectorIN6thrust23THRUST_200600_302600_NS5tupleIbffNS6_9null_typeES8_S8_S8_S8_S8_S8_EEEEZNS1_11reduce_implILb1ES3_NS6_11hip_rocprim26transform_input_iterator_tIS9_NS6_12zip_iteratorINS7_INS6_17counting_iteratorIiNS6_11use_defaultESG_SG_EENS6_6detail15normal_iteratorINS6_10device_ptrIfEEEES8_S8_S8_S8_S8_S8_S8_S8_EEEE15transform_tupleIifEEEPS9_S9_12reduce_tupleIifEEE10hipError_tPvRmT1_T2_T3_mT4_P12ihipStream_tbEUlT_E1_NS1_11comp_targetILNS1_3genE10ELNS1_11target_archE1201ELNS1_3gpuE5ELNS1_3repE0EEENS1_30default_config_static_selectorELNS0_4arch9wavefront6targetE1EEEvSY_
	.p2align	8
	.type	_ZN7rocprim17ROCPRIM_400000_NS6detail17trampoline_kernelINS0_14default_configENS1_22reduce_config_selectorIN6thrust23THRUST_200600_302600_NS5tupleIbffNS6_9null_typeES8_S8_S8_S8_S8_S8_EEEEZNS1_11reduce_implILb1ES3_NS6_11hip_rocprim26transform_input_iterator_tIS9_NS6_12zip_iteratorINS7_INS6_17counting_iteratorIiNS6_11use_defaultESG_SG_EENS6_6detail15normal_iteratorINS6_10device_ptrIfEEEES8_S8_S8_S8_S8_S8_S8_S8_EEEE15transform_tupleIifEEEPS9_S9_12reduce_tupleIifEEE10hipError_tPvRmT1_T2_T3_mT4_P12ihipStream_tbEUlT_E1_NS1_11comp_targetILNS1_3genE10ELNS1_11target_archE1201ELNS1_3gpuE5ELNS1_3repE0EEENS1_30default_config_static_selectorELNS0_4arch9wavefront6targetE1EEEvSY_,@function
_ZN7rocprim17ROCPRIM_400000_NS6detail17trampoline_kernelINS0_14default_configENS1_22reduce_config_selectorIN6thrust23THRUST_200600_302600_NS5tupleIbffNS6_9null_typeES8_S8_S8_S8_S8_S8_EEEEZNS1_11reduce_implILb1ES3_NS6_11hip_rocprim26transform_input_iterator_tIS9_NS6_12zip_iteratorINS7_INS6_17counting_iteratorIiNS6_11use_defaultESG_SG_EENS6_6detail15normal_iteratorINS6_10device_ptrIfEEEES8_S8_S8_S8_S8_S8_S8_S8_EEEE15transform_tupleIifEEEPS9_S9_12reduce_tupleIifEEE10hipError_tPvRmT1_T2_T3_mT4_P12ihipStream_tbEUlT_E1_NS1_11comp_targetILNS1_3genE10ELNS1_11target_archE1201ELNS1_3gpuE5ELNS1_3repE0EEENS1_30default_config_static_selectorELNS0_4arch9wavefront6targetE1EEEvSY_: ; @_ZN7rocprim17ROCPRIM_400000_NS6detail17trampoline_kernelINS0_14default_configENS1_22reduce_config_selectorIN6thrust23THRUST_200600_302600_NS5tupleIbffNS6_9null_typeES8_S8_S8_S8_S8_S8_EEEEZNS1_11reduce_implILb1ES3_NS6_11hip_rocprim26transform_input_iterator_tIS9_NS6_12zip_iteratorINS7_INS6_17counting_iteratorIiNS6_11use_defaultESG_SG_EENS6_6detail15normal_iteratorINS6_10device_ptrIfEEEES8_S8_S8_S8_S8_S8_S8_S8_EEEE15transform_tupleIifEEEPS9_S9_12reduce_tupleIifEEE10hipError_tPvRmT1_T2_T3_mT4_P12ihipStream_tbEUlT_E1_NS1_11comp_targetILNS1_3genE10ELNS1_11target_archE1201ELNS1_3gpuE5ELNS1_3repE0EEENS1_30default_config_static_selectorELNS0_4arch9wavefront6targetE1EEEvSY_
; %bb.0:
	.section	.rodata,"a",@progbits
	.p2align	6, 0x0
	.amdhsa_kernel _ZN7rocprim17ROCPRIM_400000_NS6detail17trampoline_kernelINS0_14default_configENS1_22reduce_config_selectorIN6thrust23THRUST_200600_302600_NS5tupleIbffNS6_9null_typeES8_S8_S8_S8_S8_S8_EEEEZNS1_11reduce_implILb1ES3_NS6_11hip_rocprim26transform_input_iterator_tIS9_NS6_12zip_iteratorINS7_INS6_17counting_iteratorIiNS6_11use_defaultESG_SG_EENS6_6detail15normal_iteratorINS6_10device_ptrIfEEEES8_S8_S8_S8_S8_S8_S8_S8_EEEE15transform_tupleIifEEEPS9_S9_12reduce_tupleIifEEE10hipError_tPvRmT1_T2_T3_mT4_P12ihipStream_tbEUlT_E1_NS1_11comp_targetILNS1_3genE10ELNS1_11target_archE1201ELNS1_3gpuE5ELNS1_3repE0EEENS1_30default_config_static_selectorELNS0_4arch9wavefront6targetE1EEEvSY_
		.amdhsa_group_segment_fixed_size 0
		.amdhsa_private_segment_fixed_size 0
		.amdhsa_kernarg_size 64
		.amdhsa_user_sgpr_count 6
		.amdhsa_user_sgpr_private_segment_buffer 1
		.amdhsa_user_sgpr_dispatch_ptr 0
		.amdhsa_user_sgpr_queue_ptr 0
		.amdhsa_user_sgpr_kernarg_segment_ptr 1
		.amdhsa_user_sgpr_dispatch_id 0
		.amdhsa_user_sgpr_flat_scratch_init 0
		.amdhsa_user_sgpr_kernarg_preload_length 0
		.amdhsa_user_sgpr_kernarg_preload_offset 0
		.amdhsa_user_sgpr_private_segment_size 0
		.amdhsa_uses_dynamic_stack 0
		.amdhsa_system_sgpr_private_segment_wavefront_offset 0
		.amdhsa_system_sgpr_workgroup_id_x 1
		.amdhsa_system_sgpr_workgroup_id_y 0
		.amdhsa_system_sgpr_workgroup_id_z 0
		.amdhsa_system_sgpr_workgroup_info 0
		.amdhsa_system_vgpr_workitem_id 0
		.amdhsa_next_free_vgpr 1
		.amdhsa_next_free_sgpr 0
		.amdhsa_accum_offset 4
		.amdhsa_reserve_vcc 0
		.amdhsa_reserve_flat_scratch 0
		.amdhsa_float_round_mode_32 0
		.amdhsa_float_round_mode_16_64 0
		.amdhsa_float_denorm_mode_32 3
		.amdhsa_float_denorm_mode_16_64 3
		.amdhsa_dx10_clamp 1
		.amdhsa_ieee_mode 1
		.amdhsa_fp16_overflow 0
		.amdhsa_tg_split 0
		.amdhsa_exception_fp_ieee_invalid_op 0
		.amdhsa_exception_fp_denorm_src 0
		.amdhsa_exception_fp_ieee_div_zero 0
		.amdhsa_exception_fp_ieee_overflow 0
		.amdhsa_exception_fp_ieee_underflow 0
		.amdhsa_exception_fp_ieee_inexact 0
		.amdhsa_exception_int_div_zero 0
	.end_amdhsa_kernel
	.section	.text._ZN7rocprim17ROCPRIM_400000_NS6detail17trampoline_kernelINS0_14default_configENS1_22reduce_config_selectorIN6thrust23THRUST_200600_302600_NS5tupleIbffNS6_9null_typeES8_S8_S8_S8_S8_S8_EEEEZNS1_11reduce_implILb1ES3_NS6_11hip_rocprim26transform_input_iterator_tIS9_NS6_12zip_iteratorINS7_INS6_17counting_iteratorIiNS6_11use_defaultESG_SG_EENS6_6detail15normal_iteratorINS6_10device_ptrIfEEEES8_S8_S8_S8_S8_S8_S8_S8_EEEE15transform_tupleIifEEEPS9_S9_12reduce_tupleIifEEE10hipError_tPvRmT1_T2_T3_mT4_P12ihipStream_tbEUlT_E1_NS1_11comp_targetILNS1_3genE10ELNS1_11target_archE1201ELNS1_3gpuE5ELNS1_3repE0EEENS1_30default_config_static_selectorELNS0_4arch9wavefront6targetE1EEEvSY_,"axG",@progbits,_ZN7rocprim17ROCPRIM_400000_NS6detail17trampoline_kernelINS0_14default_configENS1_22reduce_config_selectorIN6thrust23THRUST_200600_302600_NS5tupleIbffNS6_9null_typeES8_S8_S8_S8_S8_S8_EEEEZNS1_11reduce_implILb1ES3_NS6_11hip_rocprim26transform_input_iterator_tIS9_NS6_12zip_iteratorINS7_INS6_17counting_iteratorIiNS6_11use_defaultESG_SG_EENS6_6detail15normal_iteratorINS6_10device_ptrIfEEEES8_S8_S8_S8_S8_S8_S8_S8_EEEE15transform_tupleIifEEEPS9_S9_12reduce_tupleIifEEE10hipError_tPvRmT1_T2_T3_mT4_P12ihipStream_tbEUlT_E1_NS1_11comp_targetILNS1_3genE10ELNS1_11target_archE1201ELNS1_3gpuE5ELNS1_3repE0EEENS1_30default_config_static_selectorELNS0_4arch9wavefront6targetE1EEEvSY_,comdat
.Lfunc_end33:
	.size	_ZN7rocprim17ROCPRIM_400000_NS6detail17trampoline_kernelINS0_14default_configENS1_22reduce_config_selectorIN6thrust23THRUST_200600_302600_NS5tupleIbffNS6_9null_typeES8_S8_S8_S8_S8_S8_EEEEZNS1_11reduce_implILb1ES3_NS6_11hip_rocprim26transform_input_iterator_tIS9_NS6_12zip_iteratorINS7_INS6_17counting_iteratorIiNS6_11use_defaultESG_SG_EENS6_6detail15normal_iteratorINS6_10device_ptrIfEEEES8_S8_S8_S8_S8_S8_S8_S8_EEEE15transform_tupleIifEEEPS9_S9_12reduce_tupleIifEEE10hipError_tPvRmT1_T2_T3_mT4_P12ihipStream_tbEUlT_E1_NS1_11comp_targetILNS1_3genE10ELNS1_11target_archE1201ELNS1_3gpuE5ELNS1_3repE0EEENS1_30default_config_static_selectorELNS0_4arch9wavefront6targetE1EEEvSY_, .Lfunc_end33-_ZN7rocprim17ROCPRIM_400000_NS6detail17trampoline_kernelINS0_14default_configENS1_22reduce_config_selectorIN6thrust23THRUST_200600_302600_NS5tupleIbffNS6_9null_typeES8_S8_S8_S8_S8_S8_EEEEZNS1_11reduce_implILb1ES3_NS6_11hip_rocprim26transform_input_iterator_tIS9_NS6_12zip_iteratorINS7_INS6_17counting_iteratorIiNS6_11use_defaultESG_SG_EENS6_6detail15normal_iteratorINS6_10device_ptrIfEEEES8_S8_S8_S8_S8_S8_S8_S8_EEEE15transform_tupleIifEEEPS9_S9_12reduce_tupleIifEEE10hipError_tPvRmT1_T2_T3_mT4_P12ihipStream_tbEUlT_E1_NS1_11comp_targetILNS1_3genE10ELNS1_11target_archE1201ELNS1_3gpuE5ELNS1_3repE0EEENS1_30default_config_static_selectorELNS0_4arch9wavefront6targetE1EEEvSY_
                                        ; -- End function
	.section	.AMDGPU.csdata,"",@progbits
; Kernel info:
; codeLenInByte = 0
; NumSgprs: 4
; NumVgprs: 0
; NumAgprs: 0
; TotalNumVgprs: 0
; ScratchSize: 0
; MemoryBound: 0
; FloatMode: 240
; IeeeMode: 1
; LDSByteSize: 0 bytes/workgroup (compile time only)
; SGPRBlocks: 0
; VGPRBlocks: 0
; NumSGPRsForWavesPerEU: 4
; NumVGPRsForWavesPerEU: 1
; AccumOffset: 4
; Occupancy: 8
; WaveLimiterHint : 0
; COMPUTE_PGM_RSRC2:SCRATCH_EN: 0
; COMPUTE_PGM_RSRC2:USER_SGPR: 6
; COMPUTE_PGM_RSRC2:TRAP_HANDLER: 0
; COMPUTE_PGM_RSRC2:TGID_X_EN: 1
; COMPUTE_PGM_RSRC2:TGID_Y_EN: 0
; COMPUTE_PGM_RSRC2:TGID_Z_EN: 0
; COMPUTE_PGM_RSRC2:TIDIG_COMP_CNT: 0
; COMPUTE_PGM_RSRC3_GFX90A:ACCUM_OFFSET: 0
; COMPUTE_PGM_RSRC3_GFX90A:TG_SPLIT: 0
	.section	.text._ZN7rocprim17ROCPRIM_400000_NS6detail17trampoline_kernelINS0_14default_configENS1_22reduce_config_selectorIN6thrust23THRUST_200600_302600_NS5tupleIbffNS6_9null_typeES8_S8_S8_S8_S8_S8_EEEEZNS1_11reduce_implILb1ES3_NS6_11hip_rocprim26transform_input_iterator_tIS9_NS6_12zip_iteratorINS7_INS6_17counting_iteratorIiNS6_11use_defaultESG_SG_EENS6_6detail15normal_iteratorINS6_10device_ptrIfEEEES8_S8_S8_S8_S8_S8_S8_S8_EEEE15transform_tupleIifEEEPS9_S9_12reduce_tupleIifEEE10hipError_tPvRmT1_T2_T3_mT4_P12ihipStream_tbEUlT_E1_NS1_11comp_targetILNS1_3genE10ELNS1_11target_archE1200ELNS1_3gpuE4ELNS1_3repE0EEENS1_30default_config_static_selectorELNS0_4arch9wavefront6targetE1EEEvSY_,"axG",@progbits,_ZN7rocprim17ROCPRIM_400000_NS6detail17trampoline_kernelINS0_14default_configENS1_22reduce_config_selectorIN6thrust23THRUST_200600_302600_NS5tupleIbffNS6_9null_typeES8_S8_S8_S8_S8_S8_EEEEZNS1_11reduce_implILb1ES3_NS6_11hip_rocprim26transform_input_iterator_tIS9_NS6_12zip_iteratorINS7_INS6_17counting_iteratorIiNS6_11use_defaultESG_SG_EENS6_6detail15normal_iteratorINS6_10device_ptrIfEEEES8_S8_S8_S8_S8_S8_S8_S8_EEEE15transform_tupleIifEEEPS9_S9_12reduce_tupleIifEEE10hipError_tPvRmT1_T2_T3_mT4_P12ihipStream_tbEUlT_E1_NS1_11comp_targetILNS1_3genE10ELNS1_11target_archE1200ELNS1_3gpuE4ELNS1_3repE0EEENS1_30default_config_static_selectorELNS0_4arch9wavefront6targetE1EEEvSY_,comdat
	.protected	_ZN7rocprim17ROCPRIM_400000_NS6detail17trampoline_kernelINS0_14default_configENS1_22reduce_config_selectorIN6thrust23THRUST_200600_302600_NS5tupleIbffNS6_9null_typeES8_S8_S8_S8_S8_S8_EEEEZNS1_11reduce_implILb1ES3_NS6_11hip_rocprim26transform_input_iterator_tIS9_NS6_12zip_iteratorINS7_INS6_17counting_iteratorIiNS6_11use_defaultESG_SG_EENS6_6detail15normal_iteratorINS6_10device_ptrIfEEEES8_S8_S8_S8_S8_S8_S8_S8_EEEE15transform_tupleIifEEEPS9_S9_12reduce_tupleIifEEE10hipError_tPvRmT1_T2_T3_mT4_P12ihipStream_tbEUlT_E1_NS1_11comp_targetILNS1_3genE10ELNS1_11target_archE1200ELNS1_3gpuE4ELNS1_3repE0EEENS1_30default_config_static_selectorELNS0_4arch9wavefront6targetE1EEEvSY_ ; -- Begin function _ZN7rocprim17ROCPRIM_400000_NS6detail17trampoline_kernelINS0_14default_configENS1_22reduce_config_selectorIN6thrust23THRUST_200600_302600_NS5tupleIbffNS6_9null_typeES8_S8_S8_S8_S8_S8_EEEEZNS1_11reduce_implILb1ES3_NS6_11hip_rocprim26transform_input_iterator_tIS9_NS6_12zip_iteratorINS7_INS6_17counting_iteratorIiNS6_11use_defaultESG_SG_EENS6_6detail15normal_iteratorINS6_10device_ptrIfEEEES8_S8_S8_S8_S8_S8_S8_S8_EEEE15transform_tupleIifEEEPS9_S9_12reduce_tupleIifEEE10hipError_tPvRmT1_T2_T3_mT4_P12ihipStream_tbEUlT_E1_NS1_11comp_targetILNS1_3genE10ELNS1_11target_archE1200ELNS1_3gpuE4ELNS1_3repE0EEENS1_30default_config_static_selectorELNS0_4arch9wavefront6targetE1EEEvSY_
	.globl	_ZN7rocprim17ROCPRIM_400000_NS6detail17trampoline_kernelINS0_14default_configENS1_22reduce_config_selectorIN6thrust23THRUST_200600_302600_NS5tupleIbffNS6_9null_typeES8_S8_S8_S8_S8_S8_EEEEZNS1_11reduce_implILb1ES3_NS6_11hip_rocprim26transform_input_iterator_tIS9_NS6_12zip_iteratorINS7_INS6_17counting_iteratorIiNS6_11use_defaultESG_SG_EENS6_6detail15normal_iteratorINS6_10device_ptrIfEEEES8_S8_S8_S8_S8_S8_S8_S8_EEEE15transform_tupleIifEEEPS9_S9_12reduce_tupleIifEEE10hipError_tPvRmT1_T2_T3_mT4_P12ihipStream_tbEUlT_E1_NS1_11comp_targetILNS1_3genE10ELNS1_11target_archE1200ELNS1_3gpuE4ELNS1_3repE0EEENS1_30default_config_static_selectorELNS0_4arch9wavefront6targetE1EEEvSY_
	.p2align	8
	.type	_ZN7rocprim17ROCPRIM_400000_NS6detail17trampoline_kernelINS0_14default_configENS1_22reduce_config_selectorIN6thrust23THRUST_200600_302600_NS5tupleIbffNS6_9null_typeES8_S8_S8_S8_S8_S8_EEEEZNS1_11reduce_implILb1ES3_NS6_11hip_rocprim26transform_input_iterator_tIS9_NS6_12zip_iteratorINS7_INS6_17counting_iteratorIiNS6_11use_defaultESG_SG_EENS6_6detail15normal_iteratorINS6_10device_ptrIfEEEES8_S8_S8_S8_S8_S8_S8_S8_EEEE15transform_tupleIifEEEPS9_S9_12reduce_tupleIifEEE10hipError_tPvRmT1_T2_T3_mT4_P12ihipStream_tbEUlT_E1_NS1_11comp_targetILNS1_3genE10ELNS1_11target_archE1200ELNS1_3gpuE4ELNS1_3repE0EEENS1_30default_config_static_selectorELNS0_4arch9wavefront6targetE1EEEvSY_,@function
_ZN7rocprim17ROCPRIM_400000_NS6detail17trampoline_kernelINS0_14default_configENS1_22reduce_config_selectorIN6thrust23THRUST_200600_302600_NS5tupleIbffNS6_9null_typeES8_S8_S8_S8_S8_S8_EEEEZNS1_11reduce_implILb1ES3_NS6_11hip_rocprim26transform_input_iterator_tIS9_NS6_12zip_iteratorINS7_INS6_17counting_iteratorIiNS6_11use_defaultESG_SG_EENS6_6detail15normal_iteratorINS6_10device_ptrIfEEEES8_S8_S8_S8_S8_S8_S8_S8_EEEE15transform_tupleIifEEEPS9_S9_12reduce_tupleIifEEE10hipError_tPvRmT1_T2_T3_mT4_P12ihipStream_tbEUlT_E1_NS1_11comp_targetILNS1_3genE10ELNS1_11target_archE1200ELNS1_3gpuE4ELNS1_3repE0EEENS1_30default_config_static_selectorELNS0_4arch9wavefront6targetE1EEEvSY_: ; @_ZN7rocprim17ROCPRIM_400000_NS6detail17trampoline_kernelINS0_14default_configENS1_22reduce_config_selectorIN6thrust23THRUST_200600_302600_NS5tupleIbffNS6_9null_typeES8_S8_S8_S8_S8_S8_EEEEZNS1_11reduce_implILb1ES3_NS6_11hip_rocprim26transform_input_iterator_tIS9_NS6_12zip_iteratorINS7_INS6_17counting_iteratorIiNS6_11use_defaultESG_SG_EENS6_6detail15normal_iteratorINS6_10device_ptrIfEEEES8_S8_S8_S8_S8_S8_S8_S8_EEEE15transform_tupleIifEEEPS9_S9_12reduce_tupleIifEEE10hipError_tPvRmT1_T2_T3_mT4_P12ihipStream_tbEUlT_E1_NS1_11comp_targetILNS1_3genE10ELNS1_11target_archE1200ELNS1_3gpuE4ELNS1_3repE0EEENS1_30default_config_static_selectorELNS0_4arch9wavefront6targetE1EEEvSY_
; %bb.0:
	.section	.rodata,"a",@progbits
	.p2align	6, 0x0
	.amdhsa_kernel _ZN7rocprim17ROCPRIM_400000_NS6detail17trampoline_kernelINS0_14default_configENS1_22reduce_config_selectorIN6thrust23THRUST_200600_302600_NS5tupleIbffNS6_9null_typeES8_S8_S8_S8_S8_S8_EEEEZNS1_11reduce_implILb1ES3_NS6_11hip_rocprim26transform_input_iterator_tIS9_NS6_12zip_iteratorINS7_INS6_17counting_iteratorIiNS6_11use_defaultESG_SG_EENS6_6detail15normal_iteratorINS6_10device_ptrIfEEEES8_S8_S8_S8_S8_S8_S8_S8_EEEE15transform_tupleIifEEEPS9_S9_12reduce_tupleIifEEE10hipError_tPvRmT1_T2_T3_mT4_P12ihipStream_tbEUlT_E1_NS1_11comp_targetILNS1_3genE10ELNS1_11target_archE1200ELNS1_3gpuE4ELNS1_3repE0EEENS1_30default_config_static_selectorELNS0_4arch9wavefront6targetE1EEEvSY_
		.amdhsa_group_segment_fixed_size 0
		.amdhsa_private_segment_fixed_size 0
		.amdhsa_kernarg_size 64
		.amdhsa_user_sgpr_count 6
		.amdhsa_user_sgpr_private_segment_buffer 1
		.amdhsa_user_sgpr_dispatch_ptr 0
		.amdhsa_user_sgpr_queue_ptr 0
		.amdhsa_user_sgpr_kernarg_segment_ptr 1
		.amdhsa_user_sgpr_dispatch_id 0
		.amdhsa_user_sgpr_flat_scratch_init 0
		.amdhsa_user_sgpr_kernarg_preload_length 0
		.amdhsa_user_sgpr_kernarg_preload_offset 0
		.amdhsa_user_sgpr_private_segment_size 0
		.amdhsa_uses_dynamic_stack 0
		.amdhsa_system_sgpr_private_segment_wavefront_offset 0
		.amdhsa_system_sgpr_workgroup_id_x 1
		.amdhsa_system_sgpr_workgroup_id_y 0
		.amdhsa_system_sgpr_workgroup_id_z 0
		.amdhsa_system_sgpr_workgroup_info 0
		.amdhsa_system_vgpr_workitem_id 0
		.amdhsa_next_free_vgpr 1
		.amdhsa_next_free_sgpr 0
		.amdhsa_accum_offset 4
		.amdhsa_reserve_vcc 0
		.amdhsa_reserve_flat_scratch 0
		.amdhsa_float_round_mode_32 0
		.amdhsa_float_round_mode_16_64 0
		.amdhsa_float_denorm_mode_32 3
		.amdhsa_float_denorm_mode_16_64 3
		.amdhsa_dx10_clamp 1
		.amdhsa_ieee_mode 1
		.amdhsa_fp16_overflow 0
		.amdhsa_tg_split 0
		.amdhsa_exception_fp_ieee_invalid_op 0
		.amdhsa_exception_fp_denorm_src 0
		.amdhsa_exception_fp_ieee_div_zero 0
		.amdhsa_exception_fp_ieee_overflow 0
		.amdhsa_exception_fp_ieee_underflow 0
		.amdhsa_exception_fp_ieee_inexact 0
		.amdhsa_exception_int_div_zero 0
	.end_amdhsa_kernel
	.section	.text._ZN7rocprim17ROCPRIM_400000_NS6detail17trampoline_kernelINS0_14default_configENS1_22reduce_config_selectorIN6thrust23THRUST_200600_302600_NS5tupleIbffNS6_9null_typeES8_S8_S8_S8_S8_S8_EEEEZNS1_11reduce_implILb1ES3_NS6_11hip_rocprim26transform_input_iterator_tIS9_NS6_12zip_iteratorINS7_INS6_17counting_iteratorIiNS6_11use_defaultESG_SG_EENS6_6detail15normal_iteratorINS6_10device_ptrIfEEEES8_S8_S8_S8_S8_S8_S8_S8_EEEE15transform_tupleIifEEEPS9_S9_12reduce_tupleIifEEE10hipError_tPvRmT1_T2_T3_mT4_P12ihipStream_tbEUlT_E1_NS1_11comp_targetILNS1_3genE10ELNS1_11target_archE1200ELNS1_3gpuE4ELNS1_3repE0EEENS1_30default_config_static_selectorELNS0_4arch9wavefront6targetE1EEEvSY_,"axG",@progbits,_ZN7rocprim17ROCPRIM_400000_NS6detail17trampoline_kernelINS0_14default_configENS1_22reduce_config_selectorIN6thrust23THRUST_200600_302600_NS5tupleIbffNS6_9null_typeES8_S8_S8_S8_S8_S8_EEEEZNS1_11reduce_implILb1ES3_NS6_11hip_rocprim26transform_input_iterator_tIS9_NS6_12zip_iteratorINS7_INS6_17counting_iteratorIiNS6_11use_defaultESG_SG_EENS6_6detail15normal_iteratorINS6_10device_ptrIfEEEES8_S8_S8_S8_S8_S8_S8_S8_EEEE15transform_tupleIifEEEPS9_S9_12reduce_tupleIifEEE10hipError_tPvRmT1_T2_T3_mT4_P12ihipStream_tbEUlT_E1_NS1_11comp_targetILNS1_3genE10ELNS1_11target_archE1200ELNS1_3gpuE4ELNS1_3repE0EEENS1_30default_config_static_selectorELNS0_4arch9wavefront6targetE1EEEvSY_,comdat
.Lfunc_end34:
	.size	_ZN7rocprim17ROCPRIM_400000_NS6detail17trampoline_kernelINS0_14default_configENS1_22reduce_config_selectorIN6thrust23THRUST_200600_302600_NS5tupleIbffNS6_9null_typeES8_S8_S8_S8_S8_S8_EEEEZNS1_11reduce_implILb1ES3_NS6_11hip_rocprim26transform_input_iterator_tIS9_NS6_12zip_iteratorINS7_INS6_17counting_iteratorIiNS6_11use_defaultESG_SG_EENS6_6detail15normal_iteratorINS6_10device_ptrIfEEEES8_S8_S8_S8_S8_S8_S8_S8_EEEE15transform_tupleIifEEEPS9_S9_12reduce_tupleIifEEE10hipError_tPvRmT1_T2_T3_mT4_P12ihipStream_tbEUlT_E1_NS1_11comp_targetILNS1_3genE10ELNS1_11target_archE1200ELNS1_3gpuE4ELNS1_3repE0EEENS1_30default_config_static_selectorELNS0_4arch9wavefront6targetE1EEEvSY_, .Lfunc_end34-_ZN7rocprim17ROCPRIM_400000_NS6detail17trampoline_kernelINS0_14default_configENS1_22reduce_config_selectorIN6thrust23THRUST_200600_302600_NS5tupleIbffNS6_9null_typeES8_S8_S8_S8_S8_S8_EEEEZNS1_11reduce_implILb1ES3_NS6_11hip_rocprim26transform_input_iterator_tIS9_NS6_12zip_iteratorINS7_INS6_17counting_iteratorIiNS6_11use_defaultESG_SG_EENS6_6detail15normal_iteratorINS6_10device_ptrIfEEEES8_S8_S8_S8_S8_S8_S8_S8_EEEE15transform_tupleIifEEEPS9_S9_12reduce_tupleIifEEE10hipError_tPvRmT1_T2_T3_mT4_P12ihipStream_tbEUlT_E1_NS1_11comp_targetILNS1_3genE10ELNS1_11target_archE1200ELNS1_3gpuE4ELNS1_3repE0EEENS1_30default_config_static_selectorELNS0_4arch9wavefront6targetE1EEEvSY_
                                        ; -- End function
	.section	.AMDGPU.csdata,"",@progbits
; Kernel info:
; codeLenInByte = 0
; NumSgprs: 4
; NumVgprs: 0
; NumAgprs: 0
; TotalNumVgprs: 0
; ScratchSize: 0
; MemoryBound: 0
; FloatMode: 240
; IeeeMode: 1
; LDSByteSize: 0 bytes/workgroup (compile time only)
; SGPRBlocks: 0
; VGPRBlocks: 0
; NumSGPRsForWavesPerEU: 4
; NumVGPRsForWavesPerEU: 1
; AccumOffset: 4
; Occupancy: 8
; WaveLimiterHint : 0
; COMPUTE_PGM_RSRC2:SCRATCH_EN: 0
; COMPUTE_PGM_RSRC2:USER_SGPR: 6
; COMPUTE_PGM_RSRC2:TRAP_HANDLER: 0
; COMPUTE_PGM_RSRC2:TGID_X_EN: 1
; COMPUTE_PGM_RSRC2:TGID_Y_EN: 0
; COMPUTE_PGM_RSRC2:TGID_Z_EN: 0
; COMPUTE_PGM_RSRC2:TIDIG_COMP_CNT: 0
; COMPUTE_PGM_RSRC3_GFX90A:ACCUM_OFFSET: 0
; COMPUTE_PGM_RSRC3_GFX90A:TG_SPLIT: 0
	.section	.text._ZN7rocprim17ROCPRIM_400000_NS6detail17trampoline_kernelINS0_14default_configENS1_22reduce_config_selectorIN6thrust23THRUST_200600_302600_NS5tupleIbffNS6_9null_typeES8_S8_S8_S8_S8_S8_EEEEZNS1_11reduce_implILb1ES3_NS6_11hip_rocprim26transform_input_iterator_tIS9_NS6_12zip_iteratorINS7_INS6_17counting_iteratorIiNS6_11use_defaultESG_SG_EENS6_6detail15normal_iteratorINS6_10device_ptrIfEEEES8_S8_S8_S8_S8_S8_S8_S8_EEEE15transform_tupleIifEEEPS9_S9_12reduce_tupleIifEEE10hipError_tPvRmT1_T2_T3_mT4_P12ihipStream_tbEUlT_E1_NS1_11comp_targetILNS1_3genE9ELNS1_11target_archE1100ELNS1_3gpuE3ELNS1_3repE0EEENS1_30default_config_static_selectorELNS0_4arch9wavefront6targetE1EEEvSY_,"axG",@progbits,_ZN7rocprim17ROCPRIM_400000_NS6detail17trampoline_kernelINS0_14default_configENS1_22reduce_config_selectorIN6thrust23THRUST_200600_302600_NS5tupleIbffNS6_9null_typeES8_S8_S8_S8_S8_S8_EEEEZNS1_11reduce_implILb1ES3_NS6_11hip_rocprim26transform_input_iterator_tIS9_NS6_12zip_iteratorINS7_INS6_17counting_iteratorIiNS6_11use_defaultESG_SG_EENS6_6detail15normal_iteratorINS6_10device_ptrIfEEEES8_S8_S8_S8_S8_S8_S8_S8_EEEE15transform_tupleIifEEEPS9_S9_12reduce_tupleIifEEE10hipError_tPvRmT1_T2_T3_mT4_P12ihipStream_tbEUlT_E1_NS1_11comp_targetILNS1_3genE9ELNS1_11target_archE1100ELNS1_3gpuE3ELNS1_3repE0EEENS1_30default_config_static_selectorELNS0_4arch9wavefront6targetE1EEEvSY_,comdat
	.protected	_ZN7rocprim17ROCPRIM_400000_NS6detail17trampoline_kernelINS0_14default_configENS1_22reduce_config_selectorIN6thrust23THRUST_200600_302600_NS5tupleIbffNS6_9null_typeES8_S8_S8_S8_S8_S8_EEEEZNS1_11reduce_implILb1ES3_NS6_11hip_rocprim26transform_input_iterator_tIS9_NS6_12zip_iteratorINS7_INS6_17counting_iteratorIiNS6_11use_defaultESG_SG_EENS6_6detail15normal_iteratorINS6_10device_ptrIfEEEES8_S8_S8_S8_S8_S8_S8_S8_EEEE15transform_tupleIifEEEPS9_S9_12reduce_tupleIifEEE10hipError_tPvRmT1_T2_T3_mT4_P12ihipStream_tbEUlT_E1_NS1_11comp_targetILNS1_3genE9ELNS1_11target_archE1100ELNS1_3gpuE3ELNS1_3repE0EEENS1_30default_config_static_selectorELNS0_4arch9wavefront6targetE1EEEvSY_ ; -- Begin function _ZN7rocprim17ROCPRIM_400000_NS6detail17trampoline_kernelINS0_14default_configENS1_22reduce_config_selectorIN6thrust23THRUST_200600_302600_NS5tupleIbffNS6_9null_typeES8_S8_S8_S8_S8_S8_EEEEZNS1_11reduce_implILb1ES3_NS6_11hip_rocprim26transform_input_iterator_tIS9_NS6_12zip_iteratorINS7_INS6_17counting_iteratorIiNS6_11use_defaultESG_SG_EENS6_6detail15normal_iteratorINS6_10device_ptrIfEEEES8_S8_S8_S8_S8_S8_S8_S8_EEEE15transform_tupleIifEEEPS9_S9_12reduce_tupleIifEEE10hipError_tPvRmT1_T2_T3_mT4_P12ihipStream_tbEUlT_E1_NS1_11comp_targetILNS1_3genE9ELNS1_11target_archE1100ELNS1_3gpuE3ELNS1_3repE0EEENS1_30default_config_static_selectorELNS0_4arch9wavefront6targetE1EEEvSY_
	.globl	_ZN7rocprim17ROCPRIM_400000_NS6detail17trampoline_kernelINS0_14default_configENS1_22reduce_config_selectorIN6thrust23THRUST_200600_302600_NS5tupleIbffNS6_9null_typeES8_S8_S8_S8_S8_S8_EEEEZNS1_11reduce_implILb1ES3_NS6_11hip_rocprim26transform_input_iterator_tIS9_NS6_12zip_iteratorINS7_INS6_17counting_iteratorIiNS6_11use_defaultESG_SG_EENS6_6detail15normal_iteratorINS6_10device_ptrIfEEEES8_S8_S8_S8_S8_S8_S8_S8_EEEE15transform_tupleIifEEEPS9_S9_12reduce_tupleIifEEE10hipError_tPvRmT1_T2_T3_mT4_P12ihipStream_tbEUlT_E1_NS1_11comp_targetILNS1_3genE9ELNS1_11target_archE1100ELNS1_3gpuE3ELNS1_3repE0EEENS1_30default_config_static_selectorELNS0_4arch9wavefront6targetE1EEEvSY_
	.p2align	8
	.type	_ZN7rocprim17ROCPRIM_400000_NS6detail17trampoline_kernelINS0_14default_configENS1_22reduce_config_selectorIN6thrust23THRUST_200600_302600_NS5tupleIbffNS6_9null_typeES8_S8_S8_S8_S8_S8_EEEEZNS1_11reduce_implILb1ES3_NS6_11hip_rocprim26transform_input_iterator_tIS9_NS6_12zip_iteratorINS7_INS6_17counting_iteratorIiNS6_11use_defaultESG_SG_EENS6_6detail15normal_iteratorINS6_10device_ptrIfEEEES8_S8_S8_S8_S8_S8_S8_S8_EEEE15transform_tupleIifEEEPS9_S9_12reduce_tupleIifEEE10hipError_tPvRmT1_T2_T3_mT4_P12ihipStream_tbEUlT_E1_NS1_11comp_targetILNS1_3genE9ELNS1_11target_archE1100ELNS1_3gpuE3ELNS1_3repE0EEENS1_30default_config_static_selectorELNS0_4arch9wavefront6targetE1EEEvSY_,@function
_ZN7rocprim17ROCPRIM_400000_NS6detail17trampoline_kernelINS0_14default_configENS1_22reduce_config_selectorIN6thrust23THRUST_200600_302600_NS5tupleIbffNS6_9null_typeES8_S8_S8_S8_S8_S8_EEEEZNS1_11reduce_implILb1ES3_NS6_11hip_rocprim26transform_input_iterator_tIS9_NS6_12zip_iteratorINS7_INS6_17counting_iteratorIiNS6_11use_defaultESG_SG_EENS6_6detail15normal_iteratorINS6_10device_ptrIfEEEES8_S8_S8_S8_S8_S8_S8_S8_EEEE15transform_tupleIifEEEPS9_S9_12reduce_tupleIifEEE10hipError_tPvRmT1_T2_T3_mT4_P12ihipStream_tbEUlT_E1_NS1_11comp_targetILNS1_3genE9ELNS1_11target_archE1100ELNS1_3gpuE3ELNS1_3repE0EEENS1_30default_config_static_selectorELNS0_4arch9wavefront6targetE1EEEvSY_: ; @_ZN7rocprim17ROCPRIM_400000_NS6detail17trampoline_kernelINS0_14default_configENS1_22reduce_config_selectorIN6thrust23THRUST_200600_302600_NS5tupleIbffNS6_9null_typeES8_S8_S8_S8_S8_S8_EEEEZNS1_11reduce_implILb1ES3_NS6_11hip_rocprim26transform_input_iterator_tIS9_NS6_12zip_iteratorINS7_INS6_17counting_iteratorIiNS6_11use_defaultESG_SG_EENS6_6detail15normal_iteratorINS6_10device_ptrIfEEEES8_S8_S8_S8_S8_S8_S8_S8_EEEE15transform_tupleIifEEEPS9_S9_12reduce_tupleIifEEE10hipError_tPvRmT1_T2_T3_mT4_P12ihipStream_tbEUlT_E1_NS1_11comp_targetILNS1_3genE9ELNS1_11target_archE1100ELNS1_3gpuE3ELNS1_3repE0EEENS1_30default_config_static_selectorELNS0_4arch9wavefront6targetE1EEEvSY_
; %bb.0:
	.section	.rodata,"a",@progbits
	.p2align	6, 0x0
	.amdhsa_kernel _ZN7rocprim17ROCPRIM_400000_NS6detail17trampoline_kernelINS0_14default_configENS1_22reduce_config_selectorIN6thrust23THRUST_200600_302600_NS5tupleIbffNS6_9null_typeES8_S8_S8_S8_S8_S8_EEEEZNS1_11reduce_implILb1ES3_NS6_11hip_rocprim26transform_input_iterator_tIS9_NS6_12zip_iteratorINS7_INS6_17counting_iteratorIiNS6_11use_defaultESG_SG_EENS6_6detail15normal_iteratorINS6_10device_ptrIfEEEES8_S8_S8_S8_S8_S8_S8_S8_EEEE15transform_tupleIifEEEPS9_S9_12reduce_tupleIifEEE10hipError_tPvRmT1_T2_T3_mT4_P12ihipStream_tbEUlT_E1_NS1_11comp_targetILNS1_3genE9ELNS1_11target_archE1100ELNS1_3gpuE3ELNS1_3repE0EEENS1_30default_config_static_selectorELNS0_4arch9wavefront6targetE1EEEvSY_
		.amdhsa_group_segment_fixed_size 0
		.amdhsa_private_segment_fixed_size 0
		.amdhsa_kernarg_size 64
		.amdhsa_user_sgpr_count 6
		.amdhsa_user_sgpr_private_segment_buffer 1
		.amdhsa_user_sgpr_dispatch_ptr 0
		.amdhsa_user_sgpr_queue_ptr 0
		.amdhsa_user_sgpr_kernarg_segment_ptr 1
		.amdhsa_user_sgpr_dispatch_id 0
		.amdhsa_user_sgpr_flat_scratch_init 0
		.amdhsa_user_sgpr_kernarg_preload_length 0
		.amdhsa_user_sgpr_kernarg_preload_offset 0
		.amdhsa_user_sgpr_private_segment_size 0
		.amdhsa_uses_dynamic_stack 0
		.amdhsa_system_sgpr_private_segment_wavefront_offset 0
		.amdhsa_system_sgpr_workgroup_id_x 1
		.amdhsa_system_sgpr_workgroup_id_y 0
		.amdhsa_system_sgpr_workgroup_id_z 0
		.amdhsa_system_sgpr_workgroup_info 0
		.amdhsa_system_vgpr_workitem_id 0
		.amdhsa_next_free_vgpr 1
		.amdhsa_next_free_sgpr 0
		.amdhsa_accum_offset 4
		.amdhsa_reserve_vcc 0
		.amdhsa_reserve_flat_scratch 0
		.amdhsa_float_round_mode_32 0
		.amdhsa_float_round_mode_16_64 0
		.amdhsa_float_denorm_mode_32 3
		.amdhsa_float_denorm_mode_16_64 3
		.amdhsa_dx10_clamp 1
		.amdhsa_ieee_mode 1
		.amdhsa_fp16_overflow 0
		.amdhsa_tg_split 0
		.amdhsa_exception_fp_ieee_invalid_op 0
		.amdhsa_exception_fp_denorm_src 0
		.amdhsa_exception_fp_ieee_div_zero 0
		.amdhsa_exception_fp_ieee_overflow 0
		.amdhsa_exception_fp_ieee_underflow 0
		.amdhsa_exception_fp_ieee_inexact 0
		.amdhsa_exception_int_div_zero 0
	.end_amdhsa_kernel
	.section	.text._ZN7rocprim17ROCPRIM_400000_NS6detail17trampoline_kernelINS0_14default_configENS1_22reduce_config_selectorIN6thrust23THRUST_200600_302600_NS5tupleIbffNS6_9null_typeES8_S8_S8_S8_S8_S8_EEEEZNS1_11reduce_implILb1ES3_NS6_11hip_rocprim26transform_input_iterator_tIS9_NS6_12zip_iteratorINS7_INS6_17counting_iteratorIiNS6_11use_defaultESG_SG_EENS6_6detail15normal_iteratorINS6_10device_ptrIfEEEES8_S8_S8_S8_S8_S8_S8_S8_EEEE15transform_tupleIifEEEPS9_S9_12reduce_tupleIifEEE10hipError_tPvRmT1_T2_T3_mT4_P12ihipStream_tbEUlT_E1_NS1_11comp_targetILNS1_3genE9ELNS1_11target_archE1100ELNS1_3gpuE3ELNS1_3repE0EEENS1_30default_config_static_selectorELNS0_4arch9wavefront6targetE1EEEvSY_,"axG",@progbits,_ZN7rocprim17ROCPRIM_400000_NS6detail17trampoline_kernelINS0_14default_configENS1_22reduce_config_selectorIN6thrust23THRUST_200600_302600_NS5tupleIbffNS6_9null_typeES8_S8_S8_S8_S8_S8_EEEEZNS1_11reduce_implILb1ES3_NS6_11hip_rocprim26transform_input_iterator_tIS9_NS6_12zip_iteratorINS7_INS6_17counting_iteratorIiNS6_11use_defaultESG_SG_EENS6_6detail15normal_iteratorINS6_10device_ptrIfEEEES8_S8_S8_S8_S8_S8_S8_S8_EEEE15transform_tupleIifEEEPS9_S9_12reduce_tupleIifEEE10hipError_tPvRmT1_T2_T3_mT4_P12ihipStream_tbEUlT_E1_NS1_11comp_targetILNS1_3genE9ELNS1_11target_archE1100ELNS1_3gpuE3ELNS1_3repE0EEENS1_30default_config_static_selectorELNS0_4arch9wavefront6targetE1EEEvSY_,comdat
.Lfunc_end35:
	.size	_ZN7rocprim17ROCPRIM_400000_NS6detail17trampoline_kernelINS0_14default_configENS1_22reduce_config_selectorIN6thrust23THRUST_200600_302600_NS5tupleIbffNS6_9null_typeES8_S8_S8_S8_S8_S8_EEEEZNS1_11reduce_implILb1ES3_NS6_11hip_rocprim26transform_input_iterator_tIS9_NS6_12zip_iteratorINS7_INS6_17counting_iteratorIiNS6_11use_defaultESG_SG_EENS6_6detail15normal_iteratorINS6_10device_ptrIfEEEES8_S8_S8_S8_S8_S8_S8_S8_EEEE15transform_tupleIifEEEPS9_S9_12reduce_tupleIifEEE10hipError_tPvRmT1_T2_T3_mT4_P12ihipStream_tbEUlT_E1_NS1_11comp_targetILNS1_3genE9ELNS1_11target_archE1100ELNS1_3gpuE3ELNS1_3repE0EEENS1_30default_config_static_selectorELNS0_4arch9wavefront6targetE1EEEvSY_, .Lfunc_end35-_ZN7rocprim17ROCPRIM_400000_NS6detail17trampoline_kernelINS0_14default_configENS1_22reduce_config_selectorIN6thrust23THRUST_200600_302600_NS5tupleIbffNS6_9null_typeES8_S8_S8_S8_S8_S8_EEEEZNS1_11reduce_implILb1ES3_NS6_11hip_rocprim26transform_input_iterator_tIS9_NS6_12zip_iteratorINS7_INS6_17counting_iteratorIiNS6_11use_defaultESG_SG_EENS6_6detail15normal_iteratorINS6_10device_ptrIfEEEES8_S8_S8_S8_S8_S8_S8_S8_EEEE15transform_tupleIifEEEPS9_S9_12reduce_tupleIifEEE10hipError_tPvRmT1_T2_T3_mT4_P12ihipStream_tbEUlT_E1_NS1_11comp_targetILNS1_3genE9ELNS1_11target_archE1100ELNS1_3gpuE3ELNS1_3repE0EEENS1_30default_config_static_selectorELNS0_4arch9wavefront6targetE1EEEvSY_
                                        ; -- End function
	.section	.AMDGPU.csdata,"",@progbits
; Kernel info:
; codeLenInByte = 0
; NumSgprs: 4
; NumVgprs: 0
; NumAgprs: 0
; TotalNumVgprs: 0
; ScratchSize: 0
; MemoryBound: 0
; FloatMode: 240
; IeeeMode: 1
; LDSByteSize: 0 bytes/workgroup (compile time only)
; SGPRBlocks: 0
; VGPRBlocks: 0
; NumSGPRsForWavesPerEU: 4
; NumVGPRsForWavesPerEU: 1
; AccumOffset: 4
; Occupancy: 8
; WaveLimiterHint : 0
; COMPUTE_PGM_RSRC2:SCRATCH_EN: 0
; COMPUTE_PGM_RSRC2:USER_SGPR: 6
; COMPUTE_PGM_RSRC2:TRAP_HANDLER: 0
; COMPUTE_PGM_RSRC2:TGID_X_EN: 1
; COMPUTE_PGM_RSRC2:TGID_Y_EN: 0
; COMPUTE_PGM_RSRC2:TGID_Z_EN: 0
; COMPUTE_PGM_RSRC2:TIDIG_COMP_CNT: 0
; COMPUTE_PGM_RSRC3_GFX90A:ACCUM_OFFSET: 0
; COMPUTE_PGM_RSRC3_GFX90A:TG_SPLIT: 0
	.section	.text._ZN7rocprim17ROCPRIM_400000_NS6detail17trampoline_kernelINS0_14default_configENS1_22reduce_config_selectorIN6thrust23THRUST_200600_302600_NS5tupleIbffNS6_9null_typeES8_S8_S8_S8_S8_S8_EEEEZNS1_11reduce_implILb1ES3_NS6_11hip_rocprim26transform_input_iterator_tIS9_NS6_12zip_iteratorINS7_INS6_17counting_iteratorIiNS6_11use_defaultESG_SG_EENS6_6detail15normal_iteratorINS6_10device_ptrIfEEEES8_S8_S8_S8_S8_S8_S8_S8_EEEE15transform_tupleIifEEEPS9_S9_12reduce_tupleIifEEE10hipError_tPvRmT1_T2_T3_mT4_P12ihipStream_tbEUlT_E1_NS1_11comp_targetILNS1_3genE8ELNS1_11target_archE1030ELNS1_3gpuE2ELNS1_3repE0EEENS1_30default_config_static_selectorELNS0_4arch9wavefront6targetE1EEEvSY_,"axG",@progbits,_ZN7rocprim17ROCPRIM_400000_NS6detail17trampoline_kernelINS0_14default_configENS1_22reduce_config_selectorIN6thrust23THRUST_200600_302600_NS5tupleIbffNS6_9null_typeES8_S8_S8_S8_S8_S8_EEEEZNS1_11reduce_implILb1ES3_NS6_11hip_rocprim26transform_input_iterator_tIS9_NS6_12zip_iteratorINS7_INS6_17counting_iteratorIiNS6_11use_defaultESG_SG_EENS6_6detail15normal_iteratorINS6_10device_ptrIfEEEES8_S8_S8_S8_S8_S8_S8_S8_EEEE15transform_tupleIifEEEPS9_S9_12reduce_tupleIifEEE10hipError_tPvRmT1_T2_T3_mT4_P12ihipStream_tbEUlT_E1_NS1_11comp_targetILNS1_3genE8ELNS1_11target_archE1030ELNS1_3gpuE2ELNS1_3repE0EEENS1_30default_config_static_selectorELNS0_4arch9wavefront6targetE1EEEvSY_,comdat
	.protected	_ZN7rocprim17ROCPRIM_400000_NS6detail17trampoline_kernelINS0_14default_configENS1_22reduce_config_selectorIN6thrust23THRUST_200600_302600_NS5tupleIbffNS6_9null_typeES8_S8_S8_S8_S8_S8_EEEEZNS1_11reduce_implILb1ES3_NS6_11hip_rocprim26transform_input_iterator_tIS9_NS6_12zip_iteratorINS7_INS6_17counting_iteratorIiNS6_11use_defaultESG_SG_EENS6_6detail15normal_iteratorINS6_10device_ptrIfEEEES8_S8_S8_S8_S8_S8_S8_S8_EEEE15transform_tupleIifEEEPS9_S9_12reduce_tupleIifEEE10hipError_tPvRmT1_T2_T3_mT4_P12ihipStream_tbEUlT_E1_NS1_11comp_targetILNS1_3genE8ELNS1_11target_archE1030ELNS1_3gpuE2ELNS1_3repE0EEENS1_30default_config_static_selectorELNS0_4arch9wavefront6targetE1EEEvSY_ ; -- Begin function _ZN7rocprim17ROCPRIM_400000_NS6detail17trampoline_kernelINS0_14default_configENS1_22reduce_config_selectorIN6thrust23THRUST_200600_302600_NS5tupleIbffNS6_9null_typeES8_S8_S8_S8_S8_S8_EEEEZNS1_11reduce_implILb1ES3_NS6_11hip_rocprim26transform_input_iterator_tIS9_NS6_12zip_iteratorINS7_INS6_17counting_iteratorIiNS6_11use_defaultESG_SG_EENS6_6detail15normal_iteratorINS6_10device_ptrIfEEEES8_S8_S8_S8_S8_S8_S8_S8_EEEE15transform_tupleIifEEEPS9_S9_12reduce_tupleIifEEE10hipError_tPvRmT1_T2_T3_mT4_P12ihipStream_tbEUlT_E1_NS1_11comp_targetILNS1_3genE8ELNS1_11target_archE1030ELNS1_3gpuE2ELNS1_3repE0EEENS1_30default_config_static_selectorELNS0_4arch9wavefront6targetE1EEEvSY_
	.globl	_ZN7rocprim17ROCPRIM_400000_NS6detail17trampoline_kernelINS0_14default_configENS1_22reduce_config_selectorIN6thrust23THRUST_200600_302600_NS5tupleIbffNS6_9null_typeES8_S8_S8_S8_S8_S8_EEEEZNS1_11reduce_implILb1ES3_NS6_11hip_rocprim26transform_input_iterator_tIS9_NS6_12zip_iteratorINS7_INS6_17counting_iteratorIiNS6_11use_defaultESG_SG_EENS6_6detail15normal_iteratorINS6_10device_ptrIfEEEES8_S8_S8_S8_S8_S8_S8_S8_EEEE15transform_tupleIifEEEPS9_S9_12reduce_tupleIifEEE10hipError_tPvRmT1_T2_T3_mT4_P12ihipStream_tbEUlT_E1_NS1_11comp_targetILNS1_3genE8ELNS1_11target_archE1030ELNS1_3gpuE2ELNS1_3repE0EEENS1_30default_config_static_selectorELNS0_4arch9wavefront6targetE1EEEvSY_
	.p2align	8
	.type	_ZN7rocprim17ROCPRIM_400000_NS6detail17trampoline_kernelINS0_14default_configENS1_22reduce_config_selectorIN6thrust23THRUST_200600_302600_NS5tupleIbffNS6_9null_typeES8_S8_S8_S8_S8_S8_EEEEZNS1_11reduce_implILb1ES3_NS6_11hip_rocprim26transform_input_iterator_tIS9_NS6_12zip_iteratorINS7_INS6_17counting_iteratorIiNS6_11use_defaultESG_SG_EENS6_6detail15normal_iteratorINS6_10device_ptrIfEEEES8_S8_S8_S8_S8_S8_S8_S8_EEEE15transform_tupleIifEEEPS9_S9_12reduce_tupleIifEEE10hipError_tPvRmT1_T2_T3_mT4_P12ihipStream_tbEUlT_E1_NS1_11comp_targetILNS1_3genE8ELNS1_11target_archE1030ELNS1_3gpuE2ELNS1_3repE0EEENS1_30default_config_static_selectorELNS0_4arch9wavefront6targetE1EEEvSY_,@function
_ZN7rocprim17ROCPRIM_400000_NS6detail17trampoline_kernelINS0_14default_configENS1_22reduce_config_selectorIN6thrust23THRUST_200600_302600_NS5tupleIbffNS6_9null_typeES8_S8_S8_S8_S8_S8_EEEEZNS1_11reduce_implILb1ES3_NS6_11hip_rocprim26transform_input_iterator_tIS9_NS6_12zip_iteratorINS7_INS6_17counting_iteratorIiNS6_11use_defaultESG_SG_EENS6_6detail15normal_iteratorINS6_10device_ptrIfEEEES8_S8_S8_S8_S8_S8_S8_S8_EEEE15transform_tupleIifEEEPS9_S9_12reduce_tupleIifEEE10hipError_tPvRmT1_T2_T3_mT4_P12ihipStream_tbEUlT_E1_NS1_11comp_targetILNS1_3genE8ELNS1_11target_archE1030ELNS1_3gpuE2ELNS1_3repE0EEENS1_30default_config_static_selectorELNS0_4arch9wavefront6targetE1EEEvSY_: ; @_ZN7rocprim17ROCPRIM_400000_NS6detail17trampoline_kernelINS0_14default_configENS1_22reduce_config_selectorIN6thrust23THRUST_200600_302600_NS5tupleIbffNS6_9null_typeES8_S8_S8_S8_S8_S8_EEEEZNS1_11reduce_implILb1ES3_NS6_11hip_rocprim26transform_input_iterator_tIS9_NS6_12zip_iteratorINS7_INS6_17counting_iteratorIiNS6_11use_defaultESG_SG_EENS6_6detail15normal_iteratorINS6_10device_ptrIfEEEES8_S8_S8_S8_S8_S8_S8_S8_EEEE15transform_tupleIifEEEPS9_S9_12reduce_tupleIifEEE10hipError_tPvRmT1_T2_T3_mT4_P12ihipStream_tbEUlT_E1_NS1_11comp_targetILNS1_3genE8ELNS1_11target_archE1030ELNS1_3gpuE2ELNS1_3repE0EEENS1_30default_config_static_selectorELNS0_4arch9wavefront6targetE1EEEvSY_
; %bb.0:
	.section	.rodata,"a",@progbits
	.p2align	6, 0x0
	.amdhsa_kernel _ZN7rocprim17ROCPRIM_400000_NS6detail17trampoline_kernelINS0_14default_configENS1_22reduce_config_selectorIN6thrust23THRUST_200600_302600_NS5tupleIbffNS6_9null_typeES8_S8_S8_S8_S8_S8_EEEEZNS1_11reduce_implILb1ES3_NS6_11hip_rocprim26transform_input_iterator_tIS9_NS6_12zip_iteratorINS7_INS6_17counting_iteratorIiNS6_11use_defaultESG_SG_EENS6_6detail15normal_iteratorINS6_10device_ptrIfEEEES8_S8_S8_S8_S8_S8_S8_S8_EEEE15transform_tupleIifEEEPS9_S9_12reduce_tupleIifEEE10hipError_tPvRmT1_T2_T3_mT4_P12ihipStream_tbEUlT_E1_NS1_11comp_targetILNS1_3genE8ELNS1_11target_archE1030ELNS1_3gpuE2ELNS1_3repE0EEENS1_30default_config_static_selectorELNS0_4arch9wavefront6targetE1EEEvSY_
		.amdhsa_group_segment_fixed_size 0
		.amdhsa_private_segment_fixed_size 0
		.amdhsa_kernarg_size 64
		.amdhsa_user_sgpr_count 6
		.amdhsa_user_sgpr_private_segment_buffer 1
		.amdhsa_user_sgpr_dispatch_ptr 0
		.amdhsa_user_sgpr_queue_ptr 0
		.amdhsa_user_sgpr_kernarg_segment_ptr 1
		.amdhsa_user_sgpr_dispatch_id 0
		.amdhsa_user_sgpr_flat_scratch_init 0
		.amdhsa_user_sgpr_kernarg_preload_length 0
		.amdhsa_user_sgpr_kernarg_preload_offset 0
		.amdhsa_user_sgpr_private_segment_size 0
		.amdhsa_uses_dynamic_stack 0
		.amdhsa_system_sgpr_private_segment_wavefront_offset 0
		.amdhsa_system_sgpr_workgroup_id_x 1
		.amdhsa_system_sgpr_workgroup_id_y 0
		.amdhsa_system_sgpr_workgroup_id_z 0
		.amdhsa_system_sgpr_workgroup_info 0
		.amdhsa_system_vgpr_workitem_id 0
		.amdhsa_next_free_vgpr 1
		.amdhsa_next_free_sgpr 0
		.amdhsa_accum_offset 4
		.amdhsa_reserve_vcc 0
		.amdhsa_reserve_flat_scratch 0
		.amdhsa_float_round_mode_32 0
		.amdhsa_float_round_mode_16_64 0
		.amdhsa_float_denorm_mode_32 3
		.amdhsa_float_denorm_mode_16_64 3
		.amdhsa_dx10_clamp 1
		.amdhsa_ieee_mode 1
		.amdhsa_fp16_overflow 0
		.amdhsa_tg_split 0
		.amdhsa_exception_fp_ieee_invalid_op 0
		.amdhsa_exception_fp_denorm_src 0
		.amdhsa_exception_fp_ieee_div_zero 0
		.amdhsa_exception_fp_ieee_overflow 0
		.amdhsa_exception_fp_ieee_underflow 0
		.amdhsa_exception_fp_ieee_inexact 0
		.amdhsa_exception_int_div_zero 0
	.end_amdhsa_kernel
	.section	.text._ZN7rocprim17ROCPRIM_400000_NS6detail17trampoline_kernelINS0_14default_configENS1_22reduce_config_selectorIN6thrust23THRUST_200600_302600_NS5tupleIbffNS6_9null_typeES8_S8_S8_S8_S8_S8_EEEEZNS1_11reduce_implILb1ES3_NS6_11hip_rocprim26transform_input_iterator_tIS9_NS6_12zip_iteratorINS7_INS6_17counting_iteratorIiNS6_11use_defaultESG_SG_EENS6_6detail15normal_iteratorINS6_10device_ptrIfEEEES8_S8_S8_S8_S8_S8_S8_S8_EEEE15transform_tupleIifEEEPS9_S9_12reduce_tupleIifEEE10hipError_tPvRmT1_T2_T3_mT4_P12ihipStream_tbEUlT_E1_NS1_11comp_targetILNS1_3genE8ELNS1_11target_archE1030ELNS1_3gpuE2ELNS1_3repE0EEENS1_30default_config_static_selectorELNS0_4arch9wavefront6targetE1EEEvSY_,"axG",@progbits,_ZN7rocprim17ROCPRIM_400000_NS6detail17trampoline_kernelINS0_14default_configENS1_22reduce_config_selectorIN6thrust23THRUST_200600_302600_NS5tupleIbffNS6_9null_typeES8_S8_S8_S8_S8_S8_EEEEZNS1_11reduce_implILb1ES3_NS6_11hip_rocprim26transform_input_iterator_tIS9_NS6_12zip_iteratorINS7_INS6_17counting_iteratorIiNS6_11use_defaultESG_SG_EENS6_6detail15normal_iteratorINS6_10device_ptrIfEEEES8_S8_S8_S8_S8_S8_S8_S8_EEEE15transform_tupleIifEEEPS9_S9_12reduce_tupleIifEEE10hipError_tPvRmT1_T2_T3_mT4_P12ihipStream_tbEUlT_E1_NS1_11comp_targetILNS1_3genE8ELNS1_11target_archE1030ELNS1_3gpuE2ELNS1_3repE0EEENS1_30default_config_static_selectorELNS0_4arch9wavefront6targetE1EEEvSY_,comdat
.Lfunc_end36:
	.size	_ZN7rocprim17ROCPRIM_400000_NS6detail17trampoline_kernelINS0_14default_configENS1_22reduce_config_selectorIN6thrust23THRUST_200600_302600_NS5tupleIbffNS6_9null_typeES8_S8_S8_S8_S8_S8_EEEEZNS1_11reduce_implILb1ES3_NS6_11hip_rocprim26transform_input_iterator_tIS9_NS6_12zip_iteratorINS7_INS6_17counting_iteratorIiNS6_11use_defaultESG_SG_EENS6_6detail15normal_iteratorINS6_10device_ptrIfEEEES8_S8_S8_S8_S8_S8_S8_S8_EEEE15transform_tupleIifEEEPS9_S9_12reduce_tupleIifEEE10hipError_tPvRmT1_T2_T3_mT4_P12ihipStream_tbEUlT_E1_NS1_11comp_targetILNS1_3genE8ELNS1_11target_archE1030ELNS1_3gpuE2ELNS1_3repE0EEENS1_30default_config_static_selectorELNS0_4arch9wavefront6targetE1EEEvSY_, .Lfunc_end36-_ZN7rocprim17ROCPRIM_400000_NS6detail17trampoline_kernelINS0_14default_configENS1_22reduce_config_selectorIN6thrust23THRUST_200600_302600_NS5tupleIbffNS6_9null_typeES8_S8_S8_S8_S8_S8_EEEEZNS1_11reduce_implILb1ES3_NS6_11hip_rocprim26transform_input_iterator_tIS9_NS6_12zip_iteratorINS7_INS6_17counting_iteratorIiNS6_11use_defaultESG_SG_EENS6_6detail15normal_iteratorINS6_10device_ptrIfEEEES8_S8_S8_S8_S8_S8_S8_S8_EEEE15transform_tupleIifEEEPS9_S9_12reduce_tupleIifEEE10hipError_tPvRmT1_T2_T3_mT4_P12ihipStream_tbEUlT_E1_NS1_11comp_targetILNS1_3genE8ELNS1_11target_archE1030ELNS1_3gpuE2ELNS1_3repE0EEENS1_30default_config_static_selectorELNS0_4arch9wavefront6targetE1EEEvSY_
                                        ; -- End function
	.section	.AMDGPU.csdata,"",@progbits
; Kernel info:
; codeLenInByte = 0
; NumSgprs: 4
; NumVgprs: 0
; NumAgprs: 0
; TotalNumVgprs: 0
; ScratchSize: 0
; MemoryBound: 0
; FloatMode: 240
; IeeeMode: 1
; LDSByteSize: 0 bytes/workgroup (compile time only)
; SGPRBlocks: 0
; VGPRBlocks: 0
; NumSGPRsForWavesPerEU: 4
; NumVGPRsForWavesPerEU: 1
; AccumOffset: 4
; Occupancy: 8
; WaveLimiterHint : 0
; COMPUTE_PGM_RSRC2:SCRATCH_EN: 0
; COMPUTE_PGM_RSRC2:USER_SGPR: 6
; COMPUTE_PGM_RSRC2:TRAP_HANDLER: 0
; COMPUTE_PGM_RSRC2:TGID_X_EN: 1
; COMPUTE_PGM_RSRC2:TGID_Y_EN: 0
; COMPUTE_PGM_RSRC2:TGID_Z_EN: 0
; COMPUTE_PGM_RSRC2:TIDIG_COMP_CNT: 0
; COMPUTE_PGM_RSRC3_GFX90A:ACCUM_OFFSET: 0
; COMPUTE_PGM_RSRC3_GFX90A:TG_SPLIT: 0
	.section	.text._ZN6thrust23THRUST_200600_302600_NS11hip_rocprim14__parallel_for6kernelILj256ENS1_10for_each_fINS0_7pointerINS0_5tupleIbffNS0_9null_typeES7_S7_S7_S7_S7_S7_EENS1_3tagENS0_11use_defaultESA_EENS0_6detail16wrapped_functionINSC_23allocator_traits_detail24construct1_via_allocatorINSC_18no_throw_allocatorINSC_19temporary_allocatorIS8_S9_EEEEEEvEEEEmLj1EEEvT0_T1_SO_,"axG",@progbits,_ZN6thrust23THRUST_200600_302600_NS11hip_rocprim14__parallel_for6kernelILj256ENS1_10for_each_fINS0_7pointerINS0_5tupleIbffNS0_9null_typeES7_S7_S7_S7_S7_S7_EENS1_3tagENS0_11use_defaultESA_EENS0_6detail16wrapped_functionINSC_23allocator_traits_detail24construct1_via_allocatorINSC_18no_throw_allocatorINSC_19temporary_allocatorIS8_S9_EEEEEEvEEEEmLj1EEEvT0_T1_SO_,comdat
	.protected	_ZN6thrust23THRUST_200600_302600_NS11hip_rocprim14__parallel_for6kernelILj256ENS1_10for_each_fINS0_7pointerINS0_5tupleIbffNS0_9null_typeES7_S7_S7_S7_S7_S7_EENS1_3tagENS0_11use_defaultESA_EENS0_6detail16wrapped_functionINSC_23allocator_traits_detail24construct1_via_allocatorINSC_18no_throw_allocatorINSC_19temporary_allocatorIS8_S9_EEEEEEvEEEEmLj1EEEvT0_T1_SO_ ; -- Begin function _ZN6thrust23THRUST_200600_302600_NS11hip_rocprim14__parallel_for6kernelILj256ENS1_10for_each_fINS0_7pointerINS0_5tupleIbffNS0_9null_typeES7_S7_S7_S7_S7_S7_EENS1_3tagENS0_11use_defaultESA_EENS0_6detail16wrapped_functionINSC_23allocator_traits_detail24construct1_via_allocatorINSC_18no_throw_allocatorINSC_19temporary_allocatorIS8_S9_EEEEEEvEEEEmLj1EEEvT0_T1_SO_
	.globl	_ZN6thrust23THRUST_200600_302600_NS11hip_rocprim14__parallel_for6kernelILj256ENS1_10for_each_fINS0_7pointerINS0_5tupleIbffNS0_9null_typeES7_S7_S7_S7_S7_S7_EENS1_3tagENS0_11use_defaultESA_EENS0_6detail16wrapped_functionINSC_23allocator_traits_detail24construct1_via_allocatorINSC_18no_throw_allocatorINSC_19temporary_allocatorIS8_S9_EEEEEEvEEEEmLj1EEEvT0_T1_SO_
	.p2align	8
	.type	_ZN6thrust23THRUST_200600_302600_NS11hip_rocprim14__parallel_for6kernelILj256ENS1_10for_each_fINS0_7pointerINS0_5tupleIbffNS0_9null_typeES7_S7_S7_S7_S7_S7_EENS1_3tagENS0_11use_defaultESA_EENS0_6detail16wrapped_functionINSC_23allocator_traits_detail24construct1_via_allocatorINSC_18no_throw_allocatorINSC_19temporary_allocatorIS8_S9_EEEEEEvEEEEmLj1EEEvT0_T1_SO_,@function
_ZN6thrust23THRUST_200600_302600_NS11hip_rocprim14__parallel_for6kernelILj256ENS1_10for_each_fINS0_7pointerINS0_5tupleIbffNS0_9null_typeES7_S7_S7_S7_S7_S7_EENS1_3tagENS0_11use_defaultESA_EENS0_6detail16wrapped_functionINSC_23allocator_traits_detail24construct1_via_allocatorINSC_18no_throw_allocatorINSC_19temporary_allocatorIS8_S9_EEEEEEvEEEEmLj1EEEvT0_T1_SO_: ; @_ZN6thrust23THRUST_200600_302600_NS11hip_rocprim14__parallel_for6kernelILj256ENS1_10for_each_fINS0_7pointerINS0_5tupleIbffNS0_9null_typeES7_S7_S7_S7_S7_S7_EENS1_3tagENS0_11use_defaultESA_EENS0_6detail16wrapped_functionINSC_23allocator_traits_detail24construct1_via_allocatorINSC_18no_throw_allocatorINSC_19temporary_allocatorIS8_S9_EEEEEEvEEEEmLj1EEEvT0_T1_SO_
; %bb.0:
	s_load_dwordx4 s[12:15], s[4:5], 0x10
	s_load_dwordx2 s[0:1], s[4:5], 0x0
	s_lshl_b32 s2, s6, 8
	v_mov_b32_e32 v2, 0x100
	v_mov_b32_e32 v3, 0
	s_waitcnt lgkmcnt(0)
	s_add_u32 s8, s2, s14
	s_addc_u32 s9, 0, s15
	s_sub_u32 s2, s12, s8
	s_subb_u32 s3, s13, s9
	v_cmp_lt_u64_e32 vcc, s[2:3], v[2:3]
	s_cbranch_vccz .LBB37_4
; %bb.1:
	v_cmp_gt_u32_e32 vcc, s2, v0
	s_mov_b64 s[4:5], 0
	s_mov_b64 s[2:3], 0
                                        ; implicit-def: $vgpr2_vgpr3
	s_and_saveexec_b64 s[6:7], vcc
	s_xor_b64 s[6:7], exec, s[6:7]
	s_cbranch_execz .LBB37_3
; %bb.2:
	s_mul_i32 s10, s9, 12
	s_mul_hi_u32 s11, s8, 12
	s_add_i32 s11, s11, s10
	s_mul_i32 s10, s8, 12
	s_add_u32 s10, s0, s10
	s_addc_u32 s11, s1, s11
	v_mad_u64_u32 v[2:3], s[10:11], v0, 12, s[10:11]
	v_mov_b32_e32 v1, 0
	s_mov_b64 s[2:3], exec
	flat_store_byte v[2:3], v1
.LBB37_3:
	s_or_b64 exec, exec, s[6:7]
	s_and_b64 vcc, exec, s[4:5]
	s_cbranch_vccnz .LBB37_5
	s_branch .LBB37_6
.LBB37_4:
	s_mov_b64 s[2:3], 0
                                        ; implicit-def: $vgpr2_vgpr3
	s_cbranch_execz .LBB37_6
.LBB37_5:
	s_mul_i32 s9, s9, 12
	s_mul_hi_u32 s4, s8, 12
	s_add_i32 s4, s4, s9
	s_mul_i32 s8, s8, 12
	s_add_u32 s0, s0, s8
	s_addc_u32 s1, s1, s4
	v_mad_u64_u32 v[2:3], s[0:1], v0, 12, s[0:1]
	v_mov_b32_e32 v0, 0
	s_or_b64 s[2:3], s[2:3], exec
	flat_store_byte v[2:3], v0
.LBB37_6:
	s_and_saveexec_b64 s[0:1], s[2:3]
	s_cbranch_execnz .LBB37_8
; %bb.7:
	s_endpgm
.LBB37_8:
	v_mov_b32_e32 v0, 0
	v_mov_b32_e32 v1, v0
	flat_store_dwordx2 v[2:3], v[0:1] offset:4
	s_endpgm
	.section	.rodata,"a",@progbits
	.p2align	6, 0x0
	.amdhsa_kernel _ZN6thrust23THRUST_200600_302600_NS11hip_rocprim14__parallel_for6kernelILj256ENS1_10for_each_fINS0_7pointerINS0_5tupleIbffNS0_9null_typeES7_S7_S7_S7_S7_S7_EENS1_3tagENS0_11use_defaultESA_EENS0_6detail16wrapped_functionINSC_23allocator_traits_detail24construct1_via_allocatorINSC_18no_throw_allocatorINSC_19temporary_allocatorIS8_S9_EEEEEEvEEEEmLj1EEEvT0_T1_SO_
		.amdhsa_group_segment_fixed_size 0
		.amdhsa_private_segment_fixed_size 0
		.amdhsa_kernarg_size 32
		.amdhsa_user_sgpr_count 6
		.amdhsa_user_sgpr_private_segment_buffer 1
		.amdhsa_user_sgpr_dispatch_ptr 0
		.amdhsa_user_sgpr_queue_ptr 0
		.amdhsa_user_sgpr_kernarg_segment_ptr 1
		.amdhsa_user_sgpr_dispatch_id 0
		.amdhsa_user_sgpr_flat_scratch_init 0
		.amdhsa_user_sgpr_kernarg_preload_length 0
		.amdhsa_user_sgpr_kernarg_preload_offset 0
		.amdhsa_user_sgpr_private_segment_size 0
		.amdhsa_uses_dynamic_stack 0
		.amdhsa_system_sgpr_private_segment_wavefront_offset 0
		.amdhsa_system_sgpr_workgroup_id_x 1
		.amdhsa_system_sgpr_workgroup_id_y 0
		.amdhsa_system_sgpr_workgroup_id_z 0
		.amdhsa_system_sgpr_workgroup_info 0
		.amdhsa_system_vgpr_workitem_id 0
		.amdhsa_next_free_vgpr 4
		.amdhsa_next_free_sgpr 16
		.amdhsa_accum_offset 4
		.amdhsa_reserve_vcc 1
		.amdhsa_reserve_flat_scratch 0
		.amdhsa_float_round_mode_32 0
		.amdhsa_float_round_mode_16_64 0
		.amdhsa_float_denorm_mode_32 3
		.amdhsa_float_denorm_mode_16_64 3
		.amdhsa_dx10_clamp 1
		.amdhsa_ieee_mode 1
		.amdhsa_fp16_overflow 0
		.amdhsa_tg_split 0
		.amdhsa_exception_fp_ieee_invalid_op 0
		.amdhsa_exception_fp_denorm_src 0
		.amdhsa_exception_fp_ieee_div_zero 0
		.amdhsa_exception_fp_ieee_overflow 0
		.amdhsa_exception_fp_ieee_underflow 0
		.amdhsa_exception_fp_ieee_inexact 0
		.amdhsa_exception_int_div_zero 0
	.end_amdhsa_kernel
	.section	.text._ZN6thrust23THRUST_200600_302600_NS11hip_rocprim14__parallel_for6kernelILj256ENS1_10for_each_fINS0_7pointerINS0_5tupleIbffNS0_9null_typeES7_S7_S7_S7_S7_S7_EENS1_3tagENS0_11use_defaultESA_EENS0_6detail16wrapped_functionINSC_23allocator_traits_detail24construct1_via_allocatorINSC_18no_throw_allocatorINSC_19temporary_allocatorIS8_S9_EEEEEEvEEEEmLj1EEEvT0_T1_SO_,"axG",@progbits,_ZN6thrust23THRUST_200600_302600_NS11hip_rocprim14__parallel_for6kernelILj256ENS1_10for_each_fINS0_7pointerINS0_5tupleIbffNS0_9null_typeES7_S7_S7_S7_S7_S7_EENS1_3tagENS0_11use_defaultESA_EENS0_6detail16wrapped_functionINSC_23allocator_traits_detail24construct1_via_allocatorINSC_18no_throw_allocatorINSC_19temporary_allocatorIS8_S9_EEEEEEvEEEEmLj1EEEvT0_T1_SO_,comdat
.Lfunc_end37:
	.size	_ZN6thrust23THRUST_200600_302600_NS11hip_rocprim14__parallel_for6kernelILj256ENS1_10for_each_fINS0_7pointerINS0_5tupleIbffNS0_9null_typeES7_S7_S7_S7_S7_S7_EENS1_3tagENS0_11use_defaultESA_EENS0_6detail16wrapped_functionINSC_23allocator_traits_detail24construct1_via_allocatorINSC_18no_throw_allocatorINSC_19temporary_allocatorIS8_S9_EEEEEEvEEEEmLj1EEEvT0_T1_SO_, .Lfunc_end37-_ZN6thrust23THRUST_200600_302600_NS11hip_rocprim14__parallel_for6kernelILj256ENS1_10for_each_fINS0_7pointerINS0_5tupleIbffNS0_9null_typeES7_S7_S7_S7_S7_S7_EENS1_3tagENS0_11use_defaultESA_EENS0_6detail16wrapped_functionINSC_23allocator_traits_detail24construct1_via_allocatorINSC_18no_throw_allocatorINSC_19temporary_allocatorIS8_S9_EEEEEEvEEEEmLj1EEEvT0_T1_SO_
                                        ; -- End function
	.section	.AMDGPU.csdata,"",@progbits
; Kernel info:
; codeLenInByte = 236
; NumSgprs: 20
; NumVgprs: 4
; NumAgprs: 0
; TotalNumVgprs: 4
; ScratchSize: 0
; MemoryBound: 0
; FloatMode: 240
; IeeeMode: 1
; LDSByteSize: 0 bytes/workgroup (compile time only)
; SGPRBlocks: 2
; VGPRBlocks: 0
; NumSGPRsForWavesPerEU: 20
; NumVGPRsForWavesPerEU: 4
; AccumOffset: 4
; Occupancy: 8
; WaveLimiterHint : 0
; COMPUTE_PGM_RSRC2:SCRATCH_EN: 0
; COMPUTE_PGM_RSRC2:USER_SGPR: 6
; COMPUTE_PGM_RSRC2:TRAP_HANDLER: 0
; COMPUTE_PGM_RSRC2:TGID_X_EN: 1
; COMPUTE_PGM_RSRC2:TGID_Y_EN: 0
; COMPUTE_PGM_RSRC2:TGID_Z_EN: 0
; COMPUTE_PGM_RSRC2:TIDIG_COMP_CNT: 0
; COMPUTE_PGM_RSRC3_GFX90A:ACCUM_OFFSET: 0
; COMPUTE_PGM_RSRC3_GFX90A:TG_SPLIT: 0
	.section	.text._ZN6thrust23THRUST_200600_302600_NS11hip_rocprim14__parallel_for6kernelILj256ENS1_10for_each_fINS0_7pointerINS0_5tupleIbffNS0_9null_typeES7_S7_S7_S7_S7_S7_EENS1_3tagENS0_11use_defaultESA_EENS0_6detail16wrapped_functionINSC_23allocator_traits_detail5gozerEvEEEElLj1EEEvT0_T1_SJ_,"axG",@progbits,_ZN6thrust23THRUST_200600_302600_NS11hip_rocprim14__parallel_for6kernelILj256ENS1_10for_each_fINS0_7pointerINS0_5tupleIbffNS0_9null_typeES7_S7_S7_S7_S7_S7_EENS1_3tagENS0_11use_defaultESA_EENS0_6detail16wrapped_functionINSC_23allocator_traits_detail5gozerEvEEEElLj1EEEvT0_T1_SJ_,comdat
	.protected	_ZN6thrust23THRUST_200600_302600_NS11hip_rocprim14__parallel_for6kernelILj256ENS1_10for_each_fINS0_7pointerINS0_5tupleIbffNS0_9null_typeES7_S7_S7_S7_S7_S7_EENS1_3tagENS0_11use_defaultESA_EENS0_6detail16wrapped_functionINSC_23allocator_traits_detail5gozerEvEEEElLj1EEEvT0_T1_SJ_ ; -- Begin function _ZN6thrust23THRUST_200600_302600_NS11hip_rocprim14__parallel_for6kernelILj256ENS1_10for_each_fINS0_7pointerINS0_5tupleIbffNS0_9null_typeES7_S7_S7_S7_S7_S7_EENS1_3tagENS0_11use_defaultESA_EENS0_6detail16wrapped_functionINSC_23allocator_traits_detail5gozerEvEEEElLj1EEEvT0_T1_SJ_
	.globl	_ZN6thrust23THRUST_200600_302600_NS11hip_rocprim14__parallel_for6kernelILj256ENS1_10for_each_fINS0_7pointerINS0_5tupleIbffNS0_9null_typeES7_S7_S7_S7_S7_S7_EENS1_3tagENS0_11use_defaultESA_EENS0_6detail16wrapped_functionINSC_23allocator_traits_detail5gozerEvEEEElLj1EEEvT0_T1_SJ_
	.p2align	8
	.type	_ZN6thrust23THRUST_200600_302600_NS11hip_rocprim14__parallel_for6kernelILj256ENS1_10for_each_fINS0_7pointerINS0_5tupleIbffNS0_9null_typeES7_S7_S7_S7_S7_S7_EENS1_3tagENS0_11use_defaultESA_EENS0_6detail16wrapped_functionINSC_23allocator_traits_detail5gozerEvEEEElLj1EEEvT0_T1_SJ_,@function
_ZN6thrust23THRUST_200600_302600_NS11hip_rocprim14__parallel_for6kernelILj256ENS1_10for_each_fINS0_7pointerINS0_5tupleIbffNS0_9null_typeES7_S7_S7_S7_S7_S7_EENS1_3tagENS0_11use_defaultESA_EENS0_6detail16wrapped_functionINSC_23allocator_traits_detail5gozerEvEEEElLj1EEEvT0_T1_SJ_: ; @_ZN6thrust23THRUST_200600_302600_NS11hip_rocprim14__parallel_for6kernelILj256ENS1_10for_each_fINS0_7pointerINS0_5tupleIbffNS0_9null_typeES7_S7_S7_S7_S7_S7_EENS1_3tagENS0_11use_defaultESA_EENS0_6detail16wrapped_functionINSC_23allocator_traits_detail5gozerEvEEEElLj1EEEvT0_T1_SJ_
; %bb.0:
	s_endpgm
	.section	.rodata,"a",@progbits
	.p2align	6, 0x0
	.amdhsa_kernel _ZN6thrust23THRUST_200600_302600_NS11hip_rocprim14__parallel_for6kernelILj256ENS1_10for_each_fINS0_7pointerINS0_5tupleIbffNS0_9null_typeES7_S7_S7_S7_S7_S7_EENS1_3tagENS0_11use_defaultESA_EENS0_6detail16wrapped_functionINSC_23allocator_traits_detail5gozerEvEEEElLj1EEEvT0_T1_SJ_
		.amdhsa_group_segment_fixed_size 0
		.amdhsa_private_segment_fixed_size 0
		.amdhsa_kernarg_size 32
		.amdhsa_user_sgpr_count 6
		.amdhsa_user_sgpr_private_segment_buffer 1
		.amdhsa_user_sgpr_dispatch_ptr 0
		.amdhsa_user_sgpr_queue_ptr 0
		.amdhsa_user_sgpr_kernarg_segment_ptr 1
		.amdhsa_user_sgpr_dispatch_id 0
		.amdhsa_user_sgpr_flat_scratch_init 0
		.amdhsa_user_sgpr_kernarg_preload_length 0
		.amdhsa_user_sgpr_kernarg_preload_offset 0
		.amdhsa_user_sgpr_private_segment_size 0
		.amdhsa_uses_dynamic_stack 0
		.amdhsa_system_sgpr_private_segment_wavefront_offset 0
		.amdhsa_system_sgpr_workgroup_id_x 1
		.amdhsa_system_sgpr_workgroup_id_y 0
		.amdhsa_system_sgpr_workgroup_id_z 0
		.amdhsa_system_sgpr_workgroup_info 0
		.amdhsa_system_vgpr_workitem_id 0
		.amdhsa_next_free_vgpr 1
		.amdhsa_next_free_sgpr 0
		.amdhsa_accum_offset 4
		.amdhsa_reserve_vcc 0
		.amdhsa_reserve_flat_scratch 0
		.amdhsa_float_round_mode_32 0
		.amdhsa_float_round_mode_16_64 0
		.amdhsa_float_denorm_mode_32 3
		.amdhsa_float_denorm_mode_16_64 3
		.amdhsa_dx10_clamp 1
		.amdhsa_ieee_mode 1
		.amdhsa_fp16_overflow 0
		.amdhsa_tg_split 0
		.amdhsa_exception_fp_ieee_invalid_op 0
		.amdhsa_exception_fp_denorm_src 0
		.amdhsa_exception_fp_ieee_div_zero 0
		.amdhsa_exception_fp_ieee_overflow 0
		.amdhsa_exception_fp_ieee_underflow 0
		.amdhsa_exception_fp_ieee_inexact 0
		.amdhsa_exception_int_div_zero 0
	.end_amdhsa_kernel
	.section	.text._ZN6thrust23THRUST_200600_302600_NS11hip_rocprim14__parallel_for6kernelILj256ENS1_10for_each_fINS0_7pointerINS0_5tupleIbffNS0_9null_typeES7_S7_S7_S7_S7_S7_EENS1_3tagENS0_11use_defaultESA_EENS0_6detail16wrapped_functionINSC_23allocator_traits_detail5gozerEvEEEElLj1EEEvT0_T1_SJ_,"axG",@progbits,_ZN6thrust23THRUST_200600_302600_NS11hip_rocprim14__parallel_for6kernelILj256ENS1_10for_each_fINS0_7pointerINS0_5tupleIbffNS0_9null_typeES7_S7_S7_S7_S7_S7_EENS1_3tagENS0_11use_defaultESA_EENS0_6detail16wrapped_functionINSC_23allocator_traits_detail5gozerEvEEEElLj1EEEvT0_T1_SJ_,comdat
.Lfunc_end38:
	.size	_ZN6thrust23THRUST_200600_302600_NS11hip_rocprim14__parallel_for6kernelILj256ENS1_10for_each_fINS0_7pointerINS0_5tupleIbffNS0_9null_typeES7_S7_S7_S7_S7_S7_EENS1_3tagENS0_11use_defaultESA_EENS0_6detail16wrapped_functionINSC_23allocator_traits_detail5gozerEvEEEElLj1EEEvT0_T1_SJ_, .Lfunc_end38-_ZN6thrust23THRUST_200600_302600_NS11hip_rocprim14__parallel_for6kernelILj256ENS1_10for_each_fINS0_7pointerINS0_5tupleIbffNS0_9null_typeES7_S7_S7_S7_S7_S7_EENS1_3tagENS0_11use_defaultESA_EENS0_6detail16wrapped_functionINSC_23allocator_traits_detail5gozerEvEEEElLj1EEEvT0_T1_SJ_
                                        ; -- End function
	.section	.AMDGPU.csdata,"",@progbits
; Kernel info:
; codeLenInByte = 4
; NumSgprs: 4
; NumVgprs: 0
; NumAgprs: 0
; TotalNumVgprs: 0
; ScratchSize: 0
; MemoryBound: 0
; FloatMode: 240
; IeeeMode: 1
; LDSByteSize: 0 bytes/workgroup (compile time only)
; SGPRBlocks: 0
; VGPRBlocks: 0
; NumSGPRsForWavesPerEU: 4
; NumVGPRsForWavesPerEU: 1
; AccumOffset: 4
; Occupancy: 8
; WaveLimiterHint : 0
; COMPUTE_PGM_RSRC2:SCRATCH_EN: 0
; COMPUTE_PGM_RSRC2:USER_SGPR: 6
; COMPUTE_PGM_RSRC2:TRAP_HANDLER: 0
; COMPUTE_PGM_RSRC2:TGID_X_EN: 1
; COMPUTE_PGM_RSRC2:TGID_Y_EN: 0
; COMPUTE_PGM_RSRC2:TGID_Z_EN: 0
; COMPUTE_PGM_RSRC2:TIDIG_COMP_CNT: 0
; COMPUTE_PGM_RSRC3_GFX90A:ACCUM_OFFSET: 0
; COMPUTE_PGM_RSRC3_GFX90A:TG_SPLIT: 0
	.section	.text._ZN6thrust23THRUST_200600_302600_NS11hip_rocprim14__parallel_for6kernelILj256ENS1_20__uninitialized_copy7functorIPNS0_5tupleIbffNS0_9null_typeES7_S7_S7_S7_S7_S7_EENS0_7pointerIS8_NS1_3tagENS0_11use_defaultESC_EEEEmLj1EEEvT0_T1_SG_,"axG",@progbits,_ZN6thrust23THRUST_200600_302600_NS11hip_rocprim14__parallel_for6kernelILj256ENS1_20__uninitialized_copy7functorIPNS0_5tupleIbffNS0_9null_typeES7_S7_S7_S7_S7_S7_EENS0_7pointerIS8_NS1_3tagENS0_11use_defaultESC_EEEEmLj1EEEvT0_T1_SG_,comdat
	.protected	_ZN6thrust23THRUST_200600_302600_NS11hip_rocprim14__parallel_for6kernelILj256ENS1_20__uninitialized_copy7functorIPNS0_5tupleIbffNS0_9null_typeES7_S7_S7_S7_S7_S7_EENS0_7pointerIS8_NS1_3tagENS0_11use_defaultESC_EEEEmLj1EEEvT0_T1_SG_ ; -- Begin function _ZN6thrust23THRUST_200600_302600_NS11hip_rocprim14__parallel_for6kernelILj256ENS1_20__uninitialized_copy7functorIPNS0_5tupleIbffNS0_9null_typeES7_S7_S7_S7_S7_S7_EENS0_7pointerIS8_NS1_3tagENS0_11use_defaultESC_EEEEmLj1EEEvT0_T1_SG_
	.globl	_ZN6thrust23THRUST_200600_302600_NS11hip_rocprim14__parallel_for6kernelILj256ENS1_20__uninitialized_copy7functorIPNS0_5tupleIbffNS0_9null_typeES7_S7_S7_S7_S7_S7_EENS0_7pointerIS8_NS1_3tagENS0_11use_defaultESC_EEEEmLj1EEEvT0_T1_SG_
	.p2align	8
	.type	_ZN6thrust23THRUST_200600_302600_NS11hip_rocprim14__parallel_for6kernelILj256ENS1_20__uninitialized_copy7functorIPNS0_5tupleIbffNS0_9null_typeES7_S7_S7_S7_S7_S7_EENS0_7pointerIS8_NS1_3tagENS0_11use_defaultESC_EEEEmLj1EEEvT0_T1_SG_,@function
_ZN6thrust23THRUST_200600_302600_NS11hip_rocprim14__parallel_for6kernelILj256ENS1_20__uninitialized_copy7functorIPNS0_5tupleIbffNS0_9null_typeES7_S7_S7_S7_S7_S7_EENS0_7pointerIS8_NS1_3tagENS0_11use_defaultESC_EEEEmLj1EEEvT0_T1_SG_: ; @_ZN6thrust23THRUST_200600_302600_NS11hip_rocprim14__parallel_for6kernelILj256ENS1_20__uninitialized_copy7functorIPNS0_5tupleIbffNS0_9null_typeES7_S7_S7_S7_S7_S7_EENS0_7pointerIS8_NS1_3tagENS0_11use_defaultESC_EEEEmLj1EEEvT0_T1_SG_
; %bb.0:
	s_load_dwordx8 s[8:15], s[4:5], 0x0
	s_lshl_b32 s0, s6, 8
	v_mov_b32_e32 v2, 0x100
	v_mov_b32_e32 v3, 0
	s_waitcnt lgkmcnt(0)
	s_add_u32 s4, s0, s14
	s_addc_u32 s5, 0, s15
	s_sub_u32 s2, s12, s4
	s_subb_u32 s3, s13, s5
	v_cmp_lt_u64_e32 vcc, s[2:3], v[2:3]
	s_mov_b64 s[0:1], -1
	s_cbranch_vccnz .LBB39_3
; %bb.1:
	s_andn2_b64 vcc, exec, s[0:1]
	s_cbranch_vccz .LBB39_6
.LBB39_2:
	s_endpgm
.LBB39_3:
	v_cmp_gt_u32_e32 vcc, s2, v0
	s_and_saveexec_b64 s[0:1], vcc
	s_cbranch_execz .LBB39_5
; %bb.4:
	v_mov_b32_e32 v1, s5
	v_add_co_u32_e32 v5, vcc, s4, v0
	v_addc_co_u32_e32 v1, vcc, 0, v1, vcc
	v_mul_lo_u32 v1, v1, 12
	v_mad_u64_u32 v[2:3], s[2:3], v5, 12, s[8:9]
	v_add_u32_e32 v3, v1, v3
	global_load_dwordx3 v[2:4], v[2:3], off
	v_mad_u64_u32 v[6:7], s[2:3], v5, 12, s[10:11]
	v_add_u32_e32 v7, v1, v7
	s_waitcnt vmcnt(0)
	flat_store_dwordx3 v[6:7], v[2:4]
.LBB39_5:
	s_or_b64 exec, exec, s[0:1]
	s_cbranch_execnz .LBB39_2
.LBB39_6:
	v_mov_b32_e32 v1, s5
	v_add_co_u32_e32 v3, vcc, s4, v0
	v_addc_co_u32_e32 v2, vcc, 0, v1, vcc
	v_mad_u64_u32 v[0:1], s[0:1], v3, 12, s[8:9]
	v_mul_lo_u32 v6, v2, 12
	v_add_u32_e32 v1, v6, v1
	global_load_dwordx3 v[0:2], v[0:1], off
	v_mad_u64_u32 v[4:5], s[0:1], v3, 12, s[10:11]
	v_add_u32_e32 v5, v6, v5
	s_waitcnt vmcnt(0)
	flat_store_dwordx3 v[4:5], v[0:2]
	s_endpgm
	.section	.rodata,"a",@progbits
	.p2align	6, 0x0
	.amdhsa_kernel _ZN6thrust23THRUST_200600_302600_NS11hip_rocprim14__parallel_for6kernelILj256ENS1_20__uninitialized_copy7functorIPNS0_5tupleIbffNS0_9null_typeES7_S7_S7_S7_S7_S7_EENS0_7pointerIS8_NS1_3tagENS0_11use_defaultESC_EEEEmLj1EEEvT0_T1_SG_
		.amdhsa_group_segment_fixed_size 0
		.amdhsa_private_segment_fixed_size 0
		.amdhsa_kernarg_size 32
		.amdhsa_user_sgpr_count 6
		.amdhsa_user_sgpr_private_segment_buffer 1
		.amdhsa_user_sgpr_dispatch_ptr 0
		.amdhsa_user_sgpr_queue_ptr 0
		.amdhsa_user_sgpr_kernarg_segment_ptr 1
		.amdhsa_user_sgpr_dispatch_id 0
		.amdhsa_user_sgpr_flat_scratch_init 0
		.amdhsa_user_sgpr_kernarg_preload_length 0
		.amdhsa_user_sgpr_kernarg_preload_offset 0
		.amdhsa_user_sgpr_private_segment_size 0
		.amdhsa_uses_dynamic_stack 0
		.amdhsa_system_sgpr_private_segment_wavefront_offset 0
		.amdhsa_system_sgpr_workgroup_id_x 1
		.amdhsa_system_sgpr_workgroup_id_y 0
		.amdhsa_system_sgpr_workgroup_id_z 0
		.amdhsa_system_sgpr_workgroup_info 0
		.amdhsa_system_vgpr_workitem_id 0
		.amdhsa_next_free_vgpr 8
		.amdhsa_next_free_sgpr 16
		.amdhsa_accum_offset 8
		.amdhsa_reserve_vcc 1
		.amdhsa_reserve_flat_scratch 0
		.amdhsa_float_round_mode_32 0
		.amdhsa_float_round_mode_16_64 0
		.amdhsa_float_denorm_mode_32 3
		.amdhsa_float_denorm_mode_16_64 3
		.amdhsa_dx10_clamp 1
		.amdhsa_ieee_mode 1
		.amdhsa_fp16_overflow 0
		.amdhsa_tg_split 0
		.amdhsa_exception_fp_ieee_invalid_op 0
		.amdhsa_exception_fp_denorm_src 0
		.amdhsa_exception_fp_ieee_div_zero 0
		.amdhsa_exception_fp_ieee_overflow 0
		.amdhsa_exception_fp_ieee_underflow 0
		.amdhsa_exception_fp_ieee_inexact 0
		.amdhsa_exception_int_div_zero 0
	.end_amdhsa_kernel
	.section	.text._ZN6thrust23THRUST_200600_302600_NS11hip_rocprim14__parallel_for6kernelILj256ENS1_20__uninitialized_copy7functorIPNS0_5tupleIbffNS0_9null_typeES7_S7_S7_S7_S7_S7_EENS0_7pointerIS8_NS1_3tagENS0_11use_defaultESC_EEEEmLj1EEEvT0_T1_SG_,"axG",@progbits,_ZN6thrust23THRUST_200600_302600_NS11hip_rocprim14__parallel_for6kernelILj256ENS1_20__uninitialized_copy7functorIPNS0_5tupleIbffNS0_9null_typeES7_S7_S7_S7_S7_S7_EENS0_7pointerIS8_NS1_3tagENS0_11use_defaultESC_EEEEmLj1EEEvT0_T1_SG_,comdat
.Lfunc_end39:
	.size	_ZN6thrust23THRUST_200600_302600_NS11hip_rocprim14__parallel_for6kernelILj256ENS1_20__uninitialized_copy7functorIPNS0_5tupleIbffNS0_9null_typeES7_S7_S7_S7_S7_S7_EENS0_7pointerIS8_NS1_3tagENS0_11use_defaultESC_EEEEmLj1EEEvT0_T1_SG_, .Lfunc_end39-_ZN6thrust23THRUST_200600_302600_NS11hip_rocprim14__parallel_for6kernelILj256ENS1_20__uninitialized_copy7functorIPNS0_5tupleIbffNS0_9null_typeES7_S7_S7_S7_S7_S7_EENS0_7pointerIS8_NS1_3tagENS0_11use_defaultESC_EEEEmLj1EEEvT0_T1_SG_
                                        ; -- End function
	.section	.AMDGPU.csdata,"",@progbits
; Kernel info:
; codeLenInByte = 220
; NumSgprs: 20
; NumVgprs: 8
; NumAgprs: 0
; TotalNumVgprs: 8
; ScratchSize: 0
; MemoryBound: 0
; FloatMode: 240
; IeeeMode: 1
; LDSByteSize: 0 bytes/workgroup (compile time only)
; SGPRBlocks: 2
; VGPRBlocks: 0
; NumSGPRsForWavesPerEU: 20
; NumVGPRsForWavesPerEU: 8
; AccumOffset: 8
; Occupancy: 8
; WaveLimiterHint : 0
; COMPUTE_PGM_RSRC2:SCRATCH_EN: 0
; COMPUTE_PGM_RSRC2:USER_SGPR: 6
; COMPUTE_PGM_RSRC2:TRAP_HANDLER: 0
; COMPUTE_PGM_RSRC2:TGID_X_EN: 1
; COMPUTE_PGM_RSRC2:TGID_Y_EN: 0
; COMPUTE_PGM_RSRC2:TGID_Z_EN: 0
; COMPUTE_PGM_RSRC2:TIDIG_COMP_CNT: 0
; COMPUTE_PGM_RSRC3_GFX90A:ACCUM_OFFSET: 1
; COMPUTE_PGM_RSRC3_GFX90A:TG_SPLIT: 0
	.text
	.p2alignl 6, 3212836864
	.fill 256, 4, 3212836864
	.type	__hip_cuid_c5cd5fe236254213,@object ; @__hip_cuid_c5cd5fe236254213
	.section	.bss,"aw",@nobits
	.globl	__hip_cuid_c5cd5fe236254213
__hip_cuid_c5cd5fe236254213:
	.byte	0                               ; 0x0
	.size	__hip_cuid_c5cd5fe236254213, 1

	.ident	"AMD clang version 19.0.0git (https://github.com/RadeonOpenCompute/llvm-project roc-6.4.0 25133 c7fe45cf4b819c5991fe208aaa96edf142730f1d)"
	.section	".note.GNU-stack","",@progbits
	.addrsig
	.addrsig_sym __hip_cuid_c5cd5fe236254213
	.amdgpu_metadata
---
amdhsa.kernels:
  - .agpr_count:     0
    .args:
      - .offset:         0
        .size:           16
        .value_kind:     by_value
      - .offset:         16
        .size:           8
        .value_kind:     by_value
      - .offset:         24
        .size:           8
        .value_kind:     by_value
    .group_segment_fixed_size: 0
    .kernarg_segment_align: 8
    .kernarg_segment_size: 32
    .language:       OpenCL C
    .language_version:
      - 2
      - 0
    .max_flat_workgroup_size: 256
    .name:           _ZN6thrust23THRUST_200600_302600_NS11hip_rocprim14__parallel_for6kernelILj256ENS1_20__uninitialized_fill7functorINS0_10device_ptrIfEEfEEmLj1EEEvT0_T1_SA_
    .private_segment_fixed_size: 0
    .sgpr_count:     16
    .sgpr_spill_count: 0
    .symbol:         _ZN6thrust23THRUST_200600_302600_NS11hip_rocprim14__parallel_for6kernelILj256ENS1_20__uninitialized_fill7functorINS0_10device_ptrIfEEfEEmLj1EEEvT0_T1_SA_.kd
    .uniform_work_group_size: 1
    .uses_dynamic_stack: false
    .vgpr_count:     4
    .vgpr_spill_count: 0
    .wavefront_size: 64
  - .agpr_count:     0
    .args:
      - .offset:         0
        .size:           64
        .value_kind:     by_value
    .group_segment_fixed_size: 0
    .kernarg_segment_align: 8
    .kernarg_segment_size: 64
    .language:       OpenCL C
    .language_version:
      - 2
      - 0
    .max_flat_workgroup_size: 128
    .name:           _ZN7rocprim17ROCPRIM_400000_NS6detail17trampoline_kernelINS0_14default_configENS1_22reduce_config_selectorIN6thrust23THRUST_200600_302600_NS5tupleIbffNS6_9null_typeES8_S8_S8_S8_S8_S8_EEEEZNS1_11reduce_implILb1ES3_PS9_SC_S9_12reduce_tupleIifEEE10hipError_tPvRmT1_T2_T3_mT4_P12ihipStream_tbEUlT_E0_NS1_11comp_targetILNS1_3genE0ELNS1_11target_archE4294967295ELNS1_3gpuE0ELNS1_3repE0EEENS1_30default_config_static_selectorELNS0_4arch9wavefront6targetE1EEEvSI_
    .private_segment_fixed_size: 0
    .sgpr_count:     4
    .sgpr_spill_count: 0
    .symbol:         _ZN7rocprim17ROCPRIM_400000_NS6detail17trampoline_kernelINS0_14default_configENS1_22reduce_config_selectorIN6thrust23THRUST_200600_302600_NS5tupleIbffNS6_9null_typeES8_S8_S8_S8_S8_S8_EEEEZNS1_11reduce_implILb1ES3_PS9_SC_S9_12reduce_tupleIifEEE10hipError_tPvRmT1_T2_T3_mT4_P12ihipStream_tbEUlT_E0_NS1_11comp_targetILNS1_3genE0ELNS1_11target_archE4294967295ELNS1_3gpuE0ELNS1_3repE0EEENS1_30default_config_static_selectorELNS0_4arch9wavefront6targetE1EEEvSI_.kd
    .uniform_work_group_size: 1
    .uses_dynamic_stack: false
    .vgpr_count:     0
    .vgpr_spill_count: 0
    .wavefront_size: 64
  - .agpr_count:     0
    .args:
      - .offset:         0
        .size:           64
        .value_kind:     by_value
    .group_segment_fixed_size: 0
    .kernarg_segment_align: 8
    .kernarg_segment_size: 64
    .language:       OpenCL C
    .language_version:
      - 2
      - 0
    .max_flat_workgroup_size: 256
    .name:           _ZN7rocprim17ROCPRIM_400000_NS6detail17trampoline_kernelINS0_14default_configENS1_22reduce_config_selectorIN6thrust23THRUST_200600_302600_NS5tupleIbffNS6_9null_typeES8_S8_S8_S8_S8_S8_EEEEZNS1_11reduce_implILb1ES3_PS9_SC_S9_12reduce_tupleIifEEE10hipError_tPvRmT1_T2_T3_mT4_P12ihipStream_tbEUlT_E0_NS1_11comp_targetILNS1_3genE5ELNS1_11target_archE942ELNS1_3gpuE9ELNS1_3repE0EEENS1_30default_config_static_selectorELNS0_4arch9wavefront6targetE1EEEvSI_
    .private_segment_fixed_size: 0
    .sgpr_count:     4
    .sgpr_spill_count: 0
    .symbol:         _ZN7rocprim17ROCPRIM_400000_NS6detail17trampoline_kernelINS0_14default_configENS1_22reduce_config_selectorIN6thrust23THRUST_200600_302600_NS5tupleIbffNS6_9null_typeES8_S8_S8_S8_S8_S8_EEEEZNS1_11reduce_implILb1ES3_PS9_SC_S9_12reduce_tupleIifEEE10hipError_tPvRmT1_T2_T3_mT4_P12ihipStream_tbEUlT_E0_NS1_11comp_targetILNS1_3genE5ELNS1_11target_archE942ELNS1_3gpuE9ELNS1_3repE0EEENS1_30default_config_static_selectorELNS0_4arch9wavefront6targetE1EEEvSI_.kd
    .uniform_work_group_size: 1
    .uses_dynamic_stack: false
    .vgpr_count:     0
    .vgpr_spill_count: 0
    .wavefront_size: 64
  - .agpr_count:     0
    .args:
      - .offset:         0
        .size:           64
        .value_kind:     by_value
    .group_segment_fixed_size: 96
    .kernarg_segment_align: 8
    .kernarg_segment_size: 64
    .language:       OpenCL C
    .language_version:
      - 2
      - 0
    .max_flat_workgroup_size: 256
    .name:           _ZN7rocprim17ROCPRIM_400000_NS6detail17trampoline_kernelINS0_14default_configENS1_22reduce_config_selectorIN6thrust23THRUST_200600_302600_NS5tupleIbffNS6_9null_typeES8_S8_S8_S8_S8_S8_EEEEZNS1_11reduce_implILb1ES3_PS9_SC_S9_12reduce_tupleIifEEE10hipError_tPvRmT1_T2_T3_mT4_P12ihipStream_tbEUlT_E0_NS1_11comp_targetILNS1_3genE4ELNS1_11target_archE910ELNS1_3gpuE8ELNS1_3repE0EEENS1_30default_config_static_selectorELNS0_4arch9wavefront6targetE1EEEvSI_
    .private_segment_fixed_size: 0
    .sgpr_count:     26
    .sgpr_spill_count: 0
    .symbol:         _ZN7rocprim17ROCPRIM_400000_NS6detail17trampoline_kernelINS0_14default_configENS1_22reduce_config_selectorIN6thrust23THRUST_200600_302600_NS5tupleIbffNS6_9null_typeES8_S8_S8_S8_S8_S8_EEEEZNS1_11reduce_implILb1ES3_PS9_SC_S9_12reduce_tupleIifEEE10hipError_tPvRmT1_T2_T3_mT4_P12ihipStream_tbEUlT_E0_NS1_11comp_targetILNS1_3genE4ELNS1_11target_archE910ELNS1_3gpuE8ELNS1_3repE0EEENS1_30default_config_static_selectorELNS0_4arch9wavefront6targetE1EEEvSI_.kd
    .uniform_work_group_size: 1
    .uses_dynamic_stack: false
    .vgpr_count:     14
    .vgpr_spill_count: 0
    .wavefront_size: 64
  - .agpr_count:     0
    .args:
      - .offset:         0
        .size:           64
        .value_kind:     by_value
    .group_segment_fixed_size: 0
    .kernarg_segment_align: 8
    .kernarg_segment_size: 64
    .language:       OpenCL C
    .language_version:
      - 2
      - 0
    .max_flat_workgroup_size: 128
    .name:           _ZN7rocprim17ROCPRIM_400000_NS6detail17trampoline_kernelINS0_14default_configENS1_22reduce_config_selectorIN6thrust23THRUST_200600_302600_NS5tupleIbffNS6_9null_typeES8_S8_S8_S8_S8_S8_EEEEZNS1_11reduce_implILb1ES3_PS9_SC_S9_12reduce_tupleIifEEE10hipError_tPvRmT1_T2_T3_mT4_P12ihipStream_tbEUlT_E0_NS1_11comp_targetILNS1_3genE3ELNS1_11target_archE908ELNS1_3gpuE7ELNS1_3repE0EEENS1_30default_config_static_selectorELNS0_4arch9wavefront6targetE1EEEvSI_
    .private_segment_fixed_size: 0
    .sgpr_count:     4
    .sgpr_spill_count: 0
    .symbol:         _ZN7rocprim17ROCPRIM_400000_NS6detail17trampoline_kernelINS0_14default_configENS1_22reduce_config_selectorIN6thrust23THRUST_200600_302600_NS5tupleIbffNS6_9null_typeES8_S8_S8_S8_S8_S8_EEEEZNS1_11reduce_implILb1ES3_PS9_SC_S9_12reduce_tupleIifEEE10hipError_tPvRmT1_T2_T3_mT4_P12ihipStream_tbEUlT_E0_NS1_11comp_targetILNS1_3genE3ELNS1_11target_archE908ELNS1_3gpuE7ELNS1_3repE0EEENS1_30default_config_static_selectorELNS0_4arch9wavefront6targetE1EEEvSI_.kd
    .uniform_work_group_size: 1
    .uses_dynamic_stack: false
    .vgpr_count:     0
    .vgpr_spill_count: 0
    .wavefront_size: 64
  - .agpr_count:     0
    .args:
      - .offset:         0
        .size:           64
        .value_kind:     by_value
    .group_segment_fixed_size: 0
    .kernarg_segment_align: 8
    .kernarg_segment_size: 64
    .language:       OpenCL C
    .language_version:
      - 2
      - 0
    .max_flat_workgroup_size: 128
    .name:           _ZN7rocprim17ROCPRIM_400000_NS6detail17trampoline_kernelINS0_14default_configENS1_22reduce_config_selectorIN6thrust23THRUST_200600_302600_NS5tupleIbffNS6_9null_typeES8_S8_S8_S8_S8_S8_EEEEZNS1_11reduce_implILb1ES3_PS9_SC_S9_12reduce_tupleIifEEE10hipError_tPvRmT1_T2_T3_mT4_P12ihipStream_tbEUlT_E0_NS1_11comp_targetILNS1_3genE2ELNS1_11target_archE906ELNS1_3gpuE6ELNS1_3repE0EEENS1_30default_config_static_selectorELNS0_4arch9wavefront6targetE1EEEvSI_
    .private_segment_fixed_size: 0
    .sgpr_count:     4
    .sgpr_spill_count: 0
    .symbol:         _ZN7rocprim17ROCPRIM_400000_NS6detail17trampoline_kernelINS0_14default_configENS1_22reduce_config_selectorIN6thrust23THRUST_200600_302600_NS5tupleIbffNS6_9null_typeES8_S8_S8_S8_S8_S8_EEEEZNS1_11reduce_implILb1ES3_PS9_SC_S9_12reduce_tupleIifEEE10hipError_tPvRmT1_T2_T3_mT4_P12ihipStream_tbEUlT_E0_NS1_11comp_targetILNS1_3genE2ELNS1_11target_archE906ELNS1_3gpuE6ELNS1_3repE0EEENS1_30default_config_static_selectorELNS0_4arch9wavefront6targetE1EEEvSI_.kd
    .uniform_work_group_size: 1
    .uses_dynamic_stack: false
    .vgpr_count:     0
    .vgpr_spill_count: 0
    .wavefront_size: 64
  - .agpr_count:     0
    .args:
      - .offset:         0
        .size:           64
        .value_kind:     by_value
    .group_segment_fixed_size: 0
    .kernarg_segment_align: 8
    .kernarg_segment_size: 64
    .language:       OpenCL C
    .language_version:
      - 2
      - 0
    .max_flat_workgroup_size: 256
    .name:           _ZN7rocprim17ROCPRIM_400000_NS6detail17trampoline_kernelINS0_14default_configENS1_22reduce_config_selectorIN6thrust23THRUST_200600_302600_NS5tupleIbffNS6_9null_typeES8_S8_S8_S8_S8_S8_EEEEZNS1_11reduce_implILb1ES3_PS9_SC_S9_12reduce_tupleIifEEE10hipError_tPvRmT1_T2_T3_mT4_P12ihipStream_tbEUlT_E0_NS1_11comp_targetILNS1_3genE10ELNS1_11target_archE1201ELNS1_3gpuE5ELNS1_3repE0EEENS1_30default_config_static_selectorELNS0_4arch9wavefront6targetE1EEEvSI_
    .private_segment_fixed_size: 0
    .sgpr_count:     4
    .sgpr_spill_count: 0
    .symbol:         _ZN7rocprim17ROCPRIM_400000_NS6detail17trampoline_kernelINS0_14default_configENS1_22reduce_config_selectorIN6thrust23THRUST_200600_302600_NS5tupleIbffNS6_9null_typeES8_S8_S8_S8_S8_S8_EEEEZNS1_11reduce_implILb1ES3_PS9_SC_S9_12reduce_tupleIifEEE10hipError_tPvRmT1_T2_T3_mT4_P12ihipStream_tbEUlT_E0_NS1_11comp_targetILNS1_3genE10ELNS1_11target_archE1201ELNS1_3gpuE5ELNS1_3repE0EEENS1_30default_config_static_selectorELNS0_4arch9wavefront6targetE1EEEvSI_.kd
    .uniform_work_group_size: 1
    .uses_dynamic_stack: false
    .vgpr_count:     0
    .vgpr_spill_count: 0
    .wavefront_size: 64
  - .agpr_count:     0
    .args:
      - .offset:         0
        .size:           64
        .value_kind:     by_value
    .group_segment_fixed_size: 0
    .kernarg_segment_align: 8
    .kernarg_segment_size: 64
    .language:       OpenCL C
    .language_version:
      - 2
      - 0
    .max_flat_workgroup_size: 256
    .name:           _ZN7rocprim17ROCPRIM_400000_NS6detail17trampoline_kernelINS0_14default_configENS1_22reduce_config_selectorIN6thrust23THRUST_200600_302600_NS5tupleIbffNS6_9null_typeES8_S8_S8_S8_S8_S8_EEEEZNS1_11reduce_implILb1ES3_PS9_SC_S9_12reduce_tupleIifEEE10hipError_tPvRmT1_T2_T3_mT4_P12ihipStream_tbEUlT_E0_NS1_11comp_targetILNS1_3genE10ELNS1_11target_archE1200ELNS1_3gpuE4ELNS1_3repE0EEENS1_30default_config_static_selectorELNS0_4arch9wavefront6targetE1EEEvSI_
    .private_segment_fixed_size: 0
    .sgpr_count:     4
    .sgpr_spill_count: 0
    .symbol:         _ZN7rocprim17ROCPRIM_400000_NS6detail17trampoline_kernelINS0_14default_configENS1_22reduce_config_selectorIN6thrust23THRUST_200600_302600_NS5tupleIbffNS6_9null_typeES8_S8_S8_S8_S8_S8_EEEEZNS1_11reduce_implILb1ES3_PS9_SC_S9_12reduce_tupleIifEEE10hipError_tPvRmT1_T2_T3_mT4_P12ihipStream_tbEUlT_E0_NS1_11comp_targetILNS1_3genE10ELNS1_11target_archE1200ELNS1_3gpuE4ELNS1_3repE0EEENS1_30default_config_static_selectorELNS0_4arch9wavefront6targetE1EEEvSI_.kd
    .uniform_work_group_size: 1
    .uses_dynamic_stack: false
    .vgpr_count:     0
    .vgpr_spill_count: 0
    .wavefront_size: 64
  - .agpr_count:     0
    .args:
      - .offset:         0
        .size:           64
        .value_kind:     by_value
    .group_segment_fixed_size: 0
    .kernarg_segment_align: 8
    .kernarg_segment_size: 64
    .language:       OpenCL C
    .language_version:
      - 2
      - 0
    .max_flat_workgroup_size: 256
    .name:           _ZN7rocprim17ROCPRIM_400000_NS6detail17trampoline_kernelINS0_14default_configENS1_22reduce_config_selectorIN6thrust23THRUST_200600_302600_NS5tupleIbffNS6_9null_typeES8_S8_S8_S8_S8_S8_EEEEZNS1_11reduce_implILb1ES3_PS9_SC_S9_12reduce_tupleIifEEE10hipError_tPvRmT1_T2_T3_mT4_P12ihipStream_tbEUlT_E0_NS1_11comp_targetILNS1_3genE9ELNS1_11target_archE1100ELNS1_3gpuE3ELNS1_3repE0EEENS1_30default_config_static_selectorELNS0_4arch9wavefront6targetE1EEEvSI_
    .private_segment_fixed_size: 0
    .sgpr_count:     4
    .sgpr_spill_count: 0
    .symbol:         _ZN7rocprim17ROCPRIM_400000_NS6detail17trampoline_kernelINS0_14default_configENS1_22reduce_config_selectorIN6thrust23THRUST_200600_302600_NS5tupleIbffNS6_9null_typeES8_S8_S8_S8_S8_S8_EEEEZNS1_11reduce_implILb1ES3_PS9_SC_S9_12reduce_tupleIifEEE10hipError_tPvRmT1_T2_T3_mT4_P12ihipStream_tbEUlT_E0_NS1_11comp_targetILNS1_3genE9ELNS1_11target_archE1100ELNS1_3gpuE3ELNS1_3repE0EEENS1_30default_config_static_selectorELNS0_4arch9wavefront6targetE1EEEvSI_.kd
    .uniform_work_group_size: 1
    .uses_dynamic_stack: false
    .vgpr_count:     0
    .vgpr_spill_count: 0
    .wavefront_size: 64
  - .agpr_count:     0
    .args:
      - .offset:         0
        .size:           64
        .value_kind:     by_value
    .group_segment_fixed_size: 0
    .kernarg_segment_align: 8
    .kernarg_segment_size: 64
    .language:       OpenCL C
    .language_version:
      - 2
      - 0
    .max_flat_workgroup_size: 256
    .name:           _ZN7rocprim17ROCPRIM_400000_NS6detail17trampoline_kernelINS0_14default_configENS1_22reduce_config_selectorIN6thrust23THRUST_200600_302600_NS5tupleIbffNS6_9null_typeES8_S8_S8_S8_S8_S8_EEEEZNS1_11reduce_implILb1ES3_PS9_SC_S9_12reduce_tupleIifEEE10hipError_tPvRmT1_T2_T3_mT4_P12ihipStream_tbEUlT_E0_NS1_11comp_targetILNS1_3genE8ELNS1_11target_archE1030ELNS1_3gpuE2ELNS1_3repE0EEENS1_30default_config_static_selectorELNS0_4arch9wavefront6targetE1EEEvSI_
    .private_segment_fixed_size: 0
    .sgpr_count:     4
    .sgpr_spill_count: 0
    .symbol:         _ZN7rocprim17ROCPRIM_400000_NS6detail17trampoline_kernelINS0_14default_configENS1_22reduce_config_selectorIN6thrust23THRUST_200600_302600_NS5tupleIbffNS6_9null_typeES8_S8_S8_S8_S8_S8_EEEEZNS1_11reduce_implILb1ES3_PS9_SC_S9_12reduce_tupleIifEEE10hipError_tPvRmT1_T2_T3_mT4_P12ihipStream_tbEUlT_E0_NS1_11comp_targetILNS1_3genE8ELNS1_11target_archE1030ELNS1_3gpuE2ELNS1_3repE0EEENS1_30default_config_static_selectorELNS0_4arch9wavefront6targetE1EEEvSI_.kd
    .uniform_work_group_size: 1
    .uses_dynamic_stack: false
    .vgpr_count:     0
    .vgpr_spill_count: 0
    .wavefront_size: 64
  - .agpr_count:     0
    .args:
      - .offset:         0
        .size:           48
        .value_kind:     by_value
    .group_segment_fixed_size: 0
    .kernarg_segment_align: 8
    .kernarg_segment_size: 48
    .language:       OpenCL C
    .language_version:
      - 2
      - 0
    .max_flat_workgroup_size: 128
    .name:           _ZN7rocprim17ROCPRIM_400000_NS6detail17trampoline_kernelINS0_14default_configENS1_22reduce_config_selectorIN6thrust23THRUST_200600_302600_NS5tupleIbffNS6_9null_typeES8_S8_S8_S8_S8_S8_EEEEZNS1_11reduce_implILb1ES3_PS9_SC_S9_12reduce_tupleIifEEE10hipError_tPvRmT1_T2_T3_mT4_P12ihipStream_tbEUlT_E1_NS1_11comp_targetILNS1_3genE0ELNS1_11target_archE4294967295ELNS1_3gpuE0ELNS1_3repE0EEENS1_30default_config_static_selectorELNS0_4arch9wavefront6targetE1EEEvSI_
    .private_segment_fixed_size: 0
    .sgpr_count:     4
    .sgpr_spill_count: 0
    .symbol:         _ZN7rocprim17ROCPRIM_400000_NS6detail17trampoline_kernelINS0_14default_configENS1_22reduce_config_selectorIN6thrust23THRUST_200600_302600_NS5tupleIbffNS6_9null_typeES8_S8_S8_S8_S8_S8_EEEEZNS1_11reduce_implILb1ES3_PS9_SC_S9_12reduce_tupleIifEEE10hipError_tPvRmT1_T2_T3_mT4_P12ihipStream_tbEUlT_E1_NS1_11comp_targetILNS1_3genE0ELNS1_11target_archE4294967295ELNS1_3gpuE0ELNS1_3repE0EEENS1_30default_config_static_selectorELNS0_4arch9wavefront6targetE1EEEvSI_.kd
    .uniform_work_group_size: 1
    .uses_dynamic_stack: false
    .vgpr_count:     0
    .vgpr_spill_count: 0
    .wavefront_size: 64
  - .agpr_count:     0
    .args:
      - .offset:         0
        .size:           48
        .value_kind:     by_value
    .group_segment_fixed_size: 0
    .kernarg_segment_align: 8
    .kernarg_segment_size: 48
    .language:       OpenCL C
    .language_version:
      - 2
      - 0
    .max_flat_workgroup_size: 256
    .name:           _ZN7rocprim17ROCPRIM_400000_NS6detail17trampoline_kernelINS0_14default_configENS1_22reduce_config_selectorIN6thrust23THRUST_200600_302600_NS5tupleIbffNS6_9null_typeES8_S8_S8_S8_S8_S8_EEEEZNS1_11reduce_implILb1ES3_PS9_SC_S9_12reduce_tupleIifEEE10hipError_tPvRmT1_T2_T3_mT4_P12ihipStream_tbEUlT_E1_NS1_11comp_targetILNS1_3genE5ELNS1_11target_archE942ELNS1_3gpuE9ELNS1_3repE0EEENS1_30default_config_static_selectorELNS0_4arch9wavefront6targetE1EEEvSI_
    .private_segment_fixed_size: 0
    .sgpr_count:     4
    .sgpr_spill_count: 0
    .symbol:         _ZN7rocprim17ROCPRIM_400000_NS6detail17trampoline_kernelINS0_14default_configENS1_22reduce_config_selectorIN6thrust23THRUST_200600_302600_NS5tupleIbffNS6_9null_typeES8_S8_S8_S8_S8_S8_EEEEZNS1_11reduce_implILb1ES3_PS9_SC_S9_12reduce_tupleIifEEE10hipError_tPvRmT1_T2_T3_mT4_P12ihipStream_tbEUlT_E1_NS1_11comp_targetILNS1_3genE5ELNS1_11target_archE942ELNS1_3gpuE9ELNS1_3repE0EEENS1_30default_config_static_selectorELNS0_4arch9wavefront6targetE1EEEvSI_.kd
    .uniform_work_group_size: 1
    .uses_dynamic_stack: false
    .vgpr_count:     0
    .vgpr_spill_count: 0
    .wavefront_size: 64
  - .agpr_count:     0
    .args:
      - .offset:         0
        .size:           48
        .value_kind:     by_value
    .group_segment_fixed_size: 288
    .kernarg_segment_align: 8
    .kernarg_segment_size: 48
    .language:       OpenCL C
    .language_version:
      - 2
      - 0
    .max_flat_workgroup_size: 256
    .name:           _ZN7rocprim17ROCPRIM_400000_NS6detail17trampoline_kernelINS0_14default_configENS1_22reduce_config_selectorIN6thrust23THRUST_200600_302600_NS5tupleIbffNS6_9null_typeES8_S8_S8_S8_S8_S8_EEEEZNS1_11reduce_implILb1ES3_PS9_SC_S9_12reduce_tupleIifEEE10hipError_tPvRmT1_T2_T3_mT4_P12ihipStream_tbEUlT_E1_NS1_11comp_targetILNS1_3genE4ELNS1_11target_archE910ELNS1_3gpuE8ELNS1_3repE0EEENS1_30default_config_static_selectorELNS0_4arch9wavefront6targetE1EEEvSI_
    .private_segment_fixed_size: 0
    .sgpr_count:     56
    .sgpr_spill_count: 0
    .symbol:         _ZN7rocprim17ROCPRIM_400000_NS6detail17trampoline_kernelINS0_14default_configENS1_22reduce_config_selectorIN6thrust23THRUST_200600_302600_NS5tupleIbffNS6_9null_typeES8_S8_S8_S8_S8_S8_EEEEZNS1_11reduce_implILb1ES3_PS9_SC_S9_12reduce_tupleIifEEE10hipError_tPvRmT1_T2_T3_mT4_P12ihipStream_tbEUlT_E1_NS1_11comp_targetILNS1_3genE4ELNS1_11target_archE910ELNS1_3gpuE8ELNS1_3repE0EEENS1_30default_config_static_selectorELNS0_4arch9wavefront6targetE1EEEvSI_.kd
    .uniform_work_group_size: 1
    .uses_dynamic_stack: false
    .vgpr_count:     60
    .vgpr_spill_count: 0
    .wavefront_size: 64
  - .agpr_count:     0
    .args:
      - .offset:         0
        .size:           48
        .value_kind:     by_value
    .group_segment_fixed_size: 0
    .kernarg_segment_align: 8
    .kernarg_segment_size: 48
    .language:       OpenCL C
    .language_version:
      - 2
      - 0
    .max_flat_workgroup_size: 128
    .name:           _ZN7rocprim17ROCPRIM_400000_NS6detail17trampoline_kernelINS0_14default_configENS1_22reduce_config_selectorIN6thrust23THRUST_200600_302600_NS5tupleIbffNS6_9null_typeES8_S8_S8_S8_S8_S8_EEEEZNS1_11reduce_implILb1ES3_PS9_SC_S9_12reduce_tupleIifEEE10hipError_tPvRmT1_T2_T3_mT4_P12ihipStream_tbEUlT_E1_NS1_11comp_targetILNS1_3genE3ELNS1_11target_archE908ELNS1_3gpuE7ELNS1_3repE0EEENS1_30default_config_static_selectorELNS0_4arch9wavefront6targetE1EEEvSI_
    .private_segment_fixed_size: 0
    .sgpr_count:     4
    .sgpr_spill_count: 0
    .symbol:         _ZN7rocprim17ROCPRIM_400000_NS6detail17trampoline_kernelINS0_14default_configENS1_22reduce_config_selectorIN6thrust23THRUST_200600_302600_NS5tupleIbffNS6_9null_typeES8_S8_S8_S8_S8_S8_EEEEZNS1_11reduce_implILb1ES3_PS9_SC_S9_12reduce_tupleIifEEE10hipError_tPvRmT1_T2_T3_mT4_P12ihipStream_tbEUlT_E1_NS1_11comp_targetILNS1_3genE3ELNS1_11target_archE908ELNS1_3gpuE7ELNS1_3repE0EEENS1_30default_config_static_selectorELNS0_4arch9wavefront6targetE1EEEvSI_.kd
    .uniform_work_group_size: 1
    .uses_dynamic_stack: false
    .vgpr_count:     0
    .vgpr_spill_count: 0
    .wavefront_size: 64
  - .agpr_count:     0
    .args:
      - .offset:         0
        .size:           48
        .value_kind:     by_value
    .group_segment_fixed_size: 0
    .kernarg_segment_align: 8
    .kernarg_segment_size: 48
    .language:       OpenCL C
    .language_version:
      - 2
      - 0
    .max_flat_workgroup_size: 128
    .name:           _ZN7rocprim17ROCPRIM_400000_NS6detail17trampoline_kernelINS0_14default_configENS1_22reduce_config_selectorIN6thrust23THRUST_200600_302600_NS5tupleIbffNS6_9null_typeES8_S8_S8_S8_S8_S8_EEEEZNS1_11reduce_implILb1ES3_PS9_SC_S9_12reduce_tupleIifEEE10hipError_tPvRmT1_T2_T3_mT4_P12ihipStream_tbEUlT_E1_NS1_11comp_targetILNS1_3genE2ELNS1_11target_archE906ELNS1_3gpuE6ELNS1_3repE0EEENS1_30default_config_static_selectorELNS0_4arch9wavefront6targetE1EEEvSI_
    .private_segment_fixed_size: 0
    .sgpr_count:     4
    .sgpr_spill_count: 0
    .symbol:         _ZN7rocprim17ROCPRIM_400000_NS6detail17trampoline_kernelINS0_14default_configENS1_22reduce_config_selectorIN6thrust23THRUST_200600_302600_NS5tupleIbffNS6_9null_typeES8_S8_S8_S8_S8_S8_EEEEZNS1_11reduce_implILb1ES3_PS9_SC_S9_12reduce_tupleIifEEE10hipError_tPvRmT1_T2_T3_mT4_P12ihipStream_tbEUlT_E1_NS1_11comp_targetILNS1_3genE2ELNS1_11target_archE906ELNS1_3gpuE6ELNS1_3repE0EEENS1_30default_config_static_selectorELNS0_4arch9wavefront6targetE1EEEvSI_.kd
    .uniform_work_group_size: 1
    .uses_dynamic_stack: false
    .vgpr_count:     0
    .vgpr_spill_count: 0
    .wavefront_size: 64
  - .agpr_count:     0
    .args:
      - .offset:         0
        .size:           48
        .value_kind:     by_value
    .group_segment_fixed_size: 0
    .kernarg_segment_align: 8
    .kernarg_segment_size: 48
    .language:       OpenCL C
    .language_version:
      - 2
      - 0
    .max_flat_workgroup_size: 256
    .name:           _ZN7rocprim17ROCPRIM_400000_NS6detail17trampoline_kernelINS0_14default_configENS1_22reduce_config_selectorIN6thrust23THRUST_200600_302600_NS5tupleIbffNS6_9null_typeES8_S8_S8_S8_S8_S8_EEEEZNS1_11reduce_implILb1ES3_PS9_SC_S9_12reduce_tupleIifEEE10hipError_tPvRmT1_T2_T3_mT4_P12ihipStream_tbEUlT_E1_NS1_11comp_targetILNS1_3genE10ELNS1_11target_archE1201ELNS1_3gpuE5ELNS1_3repE0EEENS1_30default_config_static_selectorELNS0_4arch9wavefront6targetE1EEEvSI_
    .private_segment_fixed_size: 0
    .sgpr_count:     4
    .sgpr_spill_count: 0
    .symbol:         _ZN7rocprim17ROCPRIM_400000_NS6detail17trampoline_kernelINS0_14default_configENS1_22reduce_config_selectorIN6thrust23THRUST_200600_302600_NS5tupleIbffNS6_9null_typeES8_S8_S8_S8_S8_S8_EEEEZNS1_11reduce_implILb1ES3_PS9_SC_S9_12reduce_tupleIifEEE10hipError_tPvRmT1_T2_T3_mT4_P12ihipStream_tbEUlT_E1_NS1_11comp_targetILNS1_3genE10ELNS1_11target_archE1201ELNS1_3gpuE5ELNS1_3repE0EEENS1_30default_config_static_selectorELNS0_4arch9wavefront6targetE1EEEvSI_.kd
    .uniform_work_group_size: 1
    .uses_dynamic_stack: false
    .vgpr_count:     0
    .vgpr_spill_count: 0
    .wavefront_size: 64
  - .agpr_count:     0
    .args:
      - .offset:         0
        .size:           48
        .value_kind:     by_value
    .group_segment_fixed_size: 0
    .kernarg_segment_align: 8
    .kernarg_segment_size: 48
    .language:       OpenCL C
    .language_version:
      - 2
      - 0
    .max_flat_workgroup_size: 256
    .name:           _ZN7rocprim17ROCPRIM_400000_NS6detail17trampoline_kernelINS0_14default_configENS1_22reduce_config_selectorIN6thrust23THRUST_200600_302600_NS5tupleIbffNS6_9null_typeES8_S8_S8_S8_S8_S8_EEEEZNS1_11reduce_implILb1ES3_PS9_SC_S9_12reduce_tupleIifEEE10hipError_tPvRmT1_T2_T3_mT4_P12ihipStream_tbEUlT_E1_NS1_11comp_targetILNS1_3genE10ELNS1_11target_archE1200ELNS1_3gpuE4ELNS1_3repE0EEENS1_30default_config_static_selectorELNS0_4arch9wavefront6targetE1EEEvSI_
    .private_segment_fixed_size: 0
    .sgpr_count:     4
    .sgpr_spill_count: 0
    .symbol:         _ZN7rocprim17ROCPRIM_400000_NS6detail17trampoline_kernelINS0_14default_configENS1_22reduce_config_selectorIN6thrust23THRUST_200600_302600_NS5tupleIbffNS6_9null_typeES8_S8_S8_S8_S8_S8_EEEEZNS1_11reduce_implILb1ES3_PS9_SC_S9_12reduce_tupleIifEEE10hipError_tPvRmT1_T2_T3_mT4_P12ihipStream_tbEUlT_E1_NS1_11comp_targetILNS1_3genE10ELNS1_11target_archE1200ELNS1_3gpuE4ELNS1_3repE0EEENS1_30default_config_static_selectorELNS0_4arch9wavefront6targetE1EEEvSI_.kd
    .uniform_work_group_size: 1
    .uses_dynamic_stack: false
    .vgpr_count:     0
    .vgpr_spill_count: 0
    .wavefront_size: 64
  - .agpr_count:     0
    .args:
      - .offset:         0
        .size:           48
        .value_kind:     by_value
    .group_segment_fixed_size: 0
    .kernarg_segment_align: 8
    .kernarg_segment_size: 48
    .language:       OpenCL C
    .language_version:
      - 2
      - 0
    .max_flat_workgroup_size: 256
    .name:           _ZN7rocprim17ROCPRIM_400000_NS6detail17trampoline_kernelINS0_14default_configENS1_22reduce_config_selectorIN6thrust23THRUST_200600_302600_NS5tupleIbffNS6_9null_typeES8_S8_S8_S8_S8_S8_EEEEZNS1_11reduce_implILb1ES3_PS9_SC_S9_12reduce_tupleIifEEE10hipError_tPvRmT1_T2_T3_mT4_P12ihipStream_tbEUlT_E1_NS1_11comp_targetILNS1_3genE9ELNS1_11target_archE1100ELNS1_3gpuE3ELNS1_3repE0EEENS1_30default_config_static_selectorELNS0_4arch9wavefront6targetE1EEEvSI_
    .private_segment_fixed_size: 0
    .sgpr_count:     4
    .sgpr_spill_count: 0
    .symbol:         _ZN7rocprim17ROCPRIM_400000_NS6detail17trampoline_kernelINS0_14default_configENS1_22reduce_config_selectorIN6thrust23THRUST_200600_302600_NS5tupleIbffNS6_9null_typeES8_S8_S8_S8_S8_S8_EEEEZNS1_11reduce_implILb1ES3_PS9_SC_S9_12reduce_tupleIifEEE10hipError_tPvRmT1_T2_T3_mT4_P12ihipStream_tbEUlT_E1_NS1_11comp_targetILNS1_3genE9ELNS1_11target_archE1100ELNS1_3gpuE3ELNS1_3repE0EEENS1_30default_config_static_selectorELNS0_4arch9wavefront6targetE1EEEvSI_.kd
    .uniform_work_group_size: 1
    .uses_dynamic_stack: false
    .vgpr_count:     0
    .vgpr_spill_count: 0
    .wavefront_size: 64
  - .agpr_count:     0
    .args:
      - .offset:         0
        .size:           48
        .value_kind:     by_value
    .group_segment_fixed_size: 0
    .kernarg_segment_align: 8
    .kernarg_segment_size: 48
    .language:       OpenCL C
    .language_version:
      - 2
      - 0
    .max_flat_workgroup_size: 256
    .name:           _ZN7rocprim17ROCPRIM_400000_NS6detail17trampoline_kernelINS0_14default_configENS1_22reduce_config_selectorIN6thrust23THRUST_200600_302600_NS5tupleIbffNS6_9null_typeES8_S8_S8_S8_S8_S8_EEEEZNS1_11reduce_implILb1ES3_PS9_SC_S9_12reduce_tupleIifEEE10hipError_tPvRmT1_T2_T3_mT4_P12ihipStream_tbEUlT_E1_NS1_11comp_targetILNS1_3genE8ELNS1_11target_archE1030ELNS1_3gpuE2ELNS1_3repE0EEENS1_30default_config_static_selectorELNS0_4arch9wavefront6targetE1EEEvSI_
    .private_segment_fixed_size: 0
    .sgpr_count:     4
    .sgpr_spill_count: 0
    .symbol:         _ZN7rocprim17ROCPRIM_400000_NS6detail17trampoline_kernelINS0_14default_configENS1_22reduce_config_selectorIN6thrust23THRUST_200600_302600_NS5tupleIbffNS6_9null_typeES8_S8_S8_S8_S8_S8_EEEEZNS1_11reduce_implILb1ES3_PS9_SC_S9_12reduce_tupleIifEEE10hipError_tPvRmT1_T2_T3_mT4_P12ihipStream_tbEUlT_E1_NS1_11comp_targetILNS1_3genE8ELNS1_11target_archE1030ELNS1_3gpuE2ELNS1_3repE0EEENS1_30default_config_static_selectorELNS0_4arch9wavefront6targetE1EEEvSI_.kd
    .uniform_work_group_size: 1
    .uses_dynamic_stack: false
    .vgpr_count:     0
    .vgpr_spill_count: 0
    .wavefront_size: 64
  - .agpr_count:     0
    .args:
      - .offset:         0
        .size:           80
        .value_kind:     by_value
    .group_segment_fixed_size: 0
    .kernarg_segment_align: 8
    .kernarg_segment_size: 80
    .language:       OpenCL C
    .language_version:
      - 2
      - 0
    .max_flat_workgroup_size: 128
    .name:           _ZN7rocprim17ROCPRIM_400000_NS6detail17trampoline_kernelINS0_14default_configENS1_22reduce_config_selectorIN6thrust23THRUST_200600_302600_NS5tupleIbffNS6_9null_typeES8_S8_S8_S8_S8_S8_EEEEZNS1_11reduce_implILb1ES3_NS6_11hip_rocprim26transform_input_iterator_tIS9_NS6_12zip_iteratorINS7_INS6_17counting_iteratorIiNS6_11use_defaultESG_SG_EENS6_6detail15normal_iteratorINS6_10device_ptrIfEEEES8_S8_S8_S8_S8_S8_S8_S8_EEEE15transform_tupleIifEEEPS9_S9_12reduce_tupleIifEEE10hipError_tPvRmT1_T2_T3_mT4_P12ihipStream_tbEUlT_E0_NS1_11comp_targetILNS1_3genE0ELNS1_11target_archE4294967295ELNS1_3gpuE0ELNS1_3repE0EEENS1_30default_config_static_selectorELNS0_4arch9wavefront6targetE1EEEvSY_
    .private_segment_fixed_size: 0
    .sgpr_count:     4
    .sgpr_spill_count: 0
    .symbol:         _ZN7rocprim17ROCPRIM_400000_NS6detail17trampoline_kernelINS0_14default_configENS1_22reduce_config_selectorIN6thrust23THRUST_200600_302600_NS5tupleIbffNS6_9null_typeES8_S8_S8_S8_S8_S8_EEEEZNS1_11reduce_implILb1ES3_NS6_11hip_rocprim26transform_input_iterator_tIS9_NS6_12zip_iteratorINS7_INS6_17counting_iteratorIiNS6_11use_defaultESG_SG_EENS6_6detail15normal_iteratorINS6_10device_ptrIfEEEES8_S8_S8_S8_S8_S8_S8_S8_EEEE15transform_tupleIifEEEPS9_S9_12reduce_tupleIifEEE10hipError_tPvRmT1_T2_T3_mT4_P12ihipStream_tbEUlT_E0_NS1_11comp_targetILNS1_3genE0ELNS1_11target_archE4294967295ELNS1_3gpuE0ELNS1_3repE0EEENS1_30default_config_static_selectorELNS0_4arch9wavefront6targetE1EEEvSY_.kd
    .uniform_work_group_size: 1
    .uses_dynamic_stack: false
    .vgpr_count:     0
    .vgpr_spill_count: 0
    .wavefront_size: 64
  - .agpr_count:     0
    .args:
      - .offset:         0
        .size:           80
        .value_kind:     by_value
    .group_segment_fixed_size: 0
    .kernarg_segment_align: 8
    .kernarg_segment_size: 80
    .language:       OpenCL C
    .language_version:
      - 2
      - 0
    .max_flat_workgroup_size: 256
    .name:           _ZN7rocprim17ROCPRIM_400000_NS6detail17trampoline_kernelINS0_14default_configENS1_22reduce_config_selectorIN6thrust23THRUST_200600_302600_NS5tupleIbffNS6_9null_typeES8_S8_S8_S8_S8_S8_EEEEZNS1_11reduce_implILb1ES3_NS6_11hip_rocprim26transform_input_iterator_tIS9_NS6_12zip_iteratorINS7_INS6_17counting_iteratorIiNS6_11use_defaultESG_SG_EENS6_6detail15normal_iteratorINS6_10device_ptrIfEEEES8_S8_S8_S8_S8_S8_S8_S8_EEEE15transform_tupleIifEEEPS9_S9_12reduce_tupleIifEEE10hipError_tPvRmT1_T2_T3_mT4_P12ihipStream_tbEUlT_E0_NS1_11comp_targetILNS1_3genE5ELNS1_11target_archE942ELNS1_3gpuE9ELNS1_3repE0EEENS1_30default_config_static_selectorELNS0_4arch9wavefront6targetE1EEEvSY_
    .private_segment_fixed_size: 0
    .sgpr_count:     4
    .sgpr_spill_count: 0
    .symbol:         _ZN7rocprim17ROCPRIM_400000_NS6detail17trampoline_kernelINS0_14default_configENS1_22reduce_config_selectorIN6thrust23THRUST_200600_302600_NS5tupleIbffNS6_9null_typeES8_S8_S8_S8_S8_S8_EEEEZNS1_11reduce_implILb1ES3_NS6_11hip_rocprim26transform_input_iterator_tIS9_NS6_12zip_iteratorINS7_INS6_17counting_iteratorIiNS6_11use_defaultESG_SG_EENS6_6detail15normal_iteratorINS6_10device_ptrIfEEEES8_S8_S8_S8_S8_S8_S8_S8_EEEE15transform_tupleIifEEEPS9_S9_12reduce_tupleIifEEE10hipError_tPvRmT1_T2_T3_mT4_P12ihipStream_tbEUlT_E0_NS1_11comp_targetILNS1_3genE5ELNS1_11target_archE942ELNS1_3gpuE9ELNS1_3repE0EEENS1_30default_config_static_selectorELNS0_4arch9wavefront6targetE1EEEvSY_.kd
    .uniform_work_group_size: 1
    .uses_dynamic_stack: false
    .vgpr_count:     0
    .vgpr_spill_count: 0
    .wavefront_size: 64
  - .agpr_count:     0
    .args:
      - .offset:         0
        .size:           80
        .value_kind:     by_value
    .group_segment_fixed_size: 96
    .kernarg_segment_align: 8
    .kernarg_segment_size: 80
    .language:       OpenCL C
    .language_version:
      - 2
      - 0
    .max_flat_workgroup_size: 256
    .name:           _ZN7rocprim17ROCPRIM_400000_NS6detail17trampoline_kernelINS0_14default_configENS1_22reduce_config_selectorIN6thrust23THRUST_200600_302600_NS5tupleIbffNS6_9null_typeES8_S8_S8_S8_S8_S8_EEEEZNS1_11reduce_implILb1ES3_NS6_11hip_rocprim26transform_input_iterator_tIS9_NS6_12zip_iteratorINS7_INS6_17counting_iteratorIiNS6_11use_defaultESG_SG_EENS6_6detail15normal_iteratorINS6_10device_ptrIfEEEES8_S8_S8_S8_S8_S8_S8_S8_EEEE15transform_tupleIifEEEPS9_S9_12reduce_tupleIifEEE10hipError_tPvRmT1_T2_T3_mT4_P12ihipStream_tbEUlT_E0_NS1_11comp_targetILNS1_3genE4ELNS1_11target_archE910ELNS1_3gpuE8ELNS1_3repE0EEENS1_30default_config_static_selectorELNS0_4arch9wavefront6targetE1EEEvSY_
    .private_segment_fixed_size: 0
    .sgpr_count:     29
    .sgpr_spill_count: 0
    .symbol:         _ZN7rocprim17ROCPRIM_400000_NS6detail17trampoline_kernelINS0_14default_configENS1_22reduce_config_selectorIN6thrust23THRUST_200600_302600_NS5tupleIbffNS6_9null_typeES8_S8_S8_S8_S8_S8_EEEEZNS1_11reduce_implILb1ES3_NS6_11hip_rocprim26transform_input_iterator_tIS9_NS6_12zip_iteratorINS7_INS6_17counting_iteratorIiNS6_11use_defaultESG_SG_EENS6_6detail15normal_iteratorINS6_10device_ptrIfEEEES8_S8_S8_S8_S8_S8_S8_S8_EEEE15transform_tupleIifEEEPS9_S9_12reduce_tupleIifEEE10hipError_tPvRmT1_T2_T3_mT4_P12ihipStream_tbEUlT_E0_NS1_11comp_targetILNS1_3genE4ELNS1_11target_archE910ELNS1_3gpuE8ELNS1_3repE0EEENS1_30default_config_static_selectorELNS0_4arch9wavefront6targetE1EEEvSY_.kd
    .uniform_work_group_size: 1
    .uses_dynamic_stack: false
    .vgpr_count:     14
    .vgpr_spill_count: 0
    .wavefront_size: 64
  - .agpr_count:     0
    .args:
      - .offset:         0
        .size:           80
        .value_kind:     by_value
    .group_segment_fixed_size: 0
    .kernarg_segment_align: 8
    .kernarg_segment_size: 80
    .language:       OpenCL C
    .language_version:
      - 2
      - 0
    .max_flat_workgroup_size: 128
    .name:           _ZN7rocprim17ROCPRIM_400000_NS6detail17trampoline_kernelINS0_14default_configENS1_22reduce_config_selectorIN6thrust23THRUST_200600_302600_NS5tupleIbffNS6_9null_typeES8_S8_S8_S8_S8_S8_EEEEZNS1_11reduce_implILb1ES3_NS6_11hip_rocprim26transform_input_iterator_tIS9_NS6_12zip_iteratorINS7_INS6_17counting_iteratorIiNS6_11use_defaultESG_SG_EENS6_6detail15normal_iteratorINS6_10device_ptrIfEEEES8_S8_S8_S8_S8_S8_S8_S8_EEEE15transform_tupleIifEEEPS9_S9_12reduce_tupleIifEEE10hipError_tPvRmT1_T2_T3_mT4_P12ihipStream_tbEUlT_E0_NS1_11comp_targetILNS1_3genE3ELNS1_11target_archE908ELNS1_3gpuE7ELNS1_3repE0EEENS1_30default_config_static_selectorELNS0_4arch9wavefront6targetE1EEEvSY_
    .private_segment_fixed_size: 0
    .sgpr_count:     4
    .sgpr_spill_count: 0
    .symbol:         _ZN7rocprim17ROCPRIM_400000_NS6detail17trampoline_kernelINS0_14default_configENS1_22reduce_config_selectorIN6thrust23THRUST_200600_302600_NS5tupleIbffNS6_9null_typeES8_S8_S8_S8_S8_S8_EEEEZNS1_11reduce_implILb1ES3_NS6_11hip_rocprim26transform_input_iterator_tIS9_NS6_12zip_iteratorINS7_INS6_17counting_iteratorIiNS6_11use_defaultESG_SG_EENS6_6detail15normal_iteratorINS6_10device_ptrIfEEEES8_S8_S8_S8_S8_S8_S8_S8_EEEE15transform_tupleIifEEEPS9_S9_12reduce_tupleIifEEE10hipError_tPvRmT1_T2_T3_mT4_P12ihipStream_tbEUlT_E0_NS1_11comp_targetILNS1_3genE3ELNS1_11target_archE908ELNS1_3gpuE7ELNS1_3repE0EEENS1_30default_config_static_selectorELNS0_4arch9wavefront6targetE1EEEvSY_.kd
    .uniform_work_group_size: 1
    .uses_dynamic_stack: false
    .vgpr_count:     0
    .vgpr_spill_count: 0
    .wavefront_size: 64
  - .agpr_count:     0
    .args:
      - .offset:         0
        .size:           80
        .value_kind:     by_value
    .group_segment_fixed_size: 0
    .kernarg_segment_align: 8
    .kernarg_segment_size: 80
    .language:       OpenCL C
    .language_version:
      - 2
      - 0
    .max_flat_workgroup_size: 128
    .name:           _ZN7rocprim17ROCPRIM_400000_NS6detail17trampoline_kernelINS0_14default_configENS1_22reduce_config_selectorIN6thrust23THRUST_200600_302600_NS5tupleIbffNS6_9null_typeES8_S8_S8_S8_S8_S8_EEEEZNS1_11reduce_implILb1ES3_NS6_11hip_rocprim26transform_input_iterator_tIS9_NS6_12zip_iteratorINS7_INS6_17counting_iteratorIiNS6_11use_defaultESG_SG_EENS6_6detail15normal_iteratorINS6_10device_ptrIfEEEES8_S8_S8_S8_S8_S8_S8_S8_EEEE15transform_tupleIifEEEPS9_S9_12reduce_tupleIifEEE10hipError_tPvRmT1_T2_T3_mT4_P12ihipStream_tbEUlT_E0_NS1_11comp_targetILNS1_3genE2ELNS1_11target_archE906ELNS1_3gpuE6ELNS1_3repE0EEENS1_30default_config_static_selectorELNS0_4arch9wavefront6targetE1EEEvSY_
    .private_segment_fixed_size: 0
    .sgpr_count:     4
    .sgpr_spill_count: 0
    .symbol:         _ZN7rocprim17ROCPRIM_400000_NS6detail17trampoline_kernelINS0_14default_configENS1_22reduce_config_selectorIN6thrust23THRUST_200600_302600_NS5tupleIbffNS6_9null_typeES8_S8_S8_S8_S8_S8_EEEEZNS1_11reduce_implILb1ES3_NS6_11hip_rocprim26transform_input_iterator_tIS9_NS6_12zip_iteratorINS7_INS6_17counting_iteratorIiNS6_11use_defaultESG_SG_EENS6_6detail15normal_iteratorINS6_10device_ptrIfEEEES8_S8_S8_S8_S8_S8_S8_S8_EEEE15transform_tupleIifEEEPS9_S9_12reduce_tupleIifEEE10hipError_tPvRmT1_T2_T3_mT4_P12ihipStream_tbEUlT_E0_NS1_11comp_targetILNS1_3genE2ELNS1_11target_archE906ELNS1_3gpuE6ELNS1_3repE0EEENS1_30default_config_static_selectorELNS0_4arch9wavefront6targetE1EEEvSY_.kd
    .uniform_work_group_size: 1
    .uses_dynamic_stack: false
    .vgpr_count:     0
    .vgpr_spill_count: 0
    .wavefront_size: 64
  - .agpr_count:     0
    .args:
      - .offset:         0
        .size:           80
        .value_kind:     by_value
    .group_segment_fixed_size: 0
    .kernarg_segment_align: 8
    .kernarg_segment_size: 80
    .language:       OpenCL C
    .language_version:
      - 2
      - 0
    .max_flat_workgroup_size: 256
    .name:           _ZN7rocprim17ROCPRIM_400000_NS6detail17trampoline_kernelINS0_14default_configENS1_22reduce_config_selectorIN6thrust23THRUST_200600_302600_NS5tupleIbffNS6_9null_typeES8_S8_S8_S8_S8_S8_EEEEZNS1_11reduce_implILb1ES3_NS6_11hip_rocprim26transform_input_iterator_tIS9_NS6_12zip_iteratorINS7_INS6_17counting_iteratorIiNS6_11use_defaultESG_SG_EENS6_6detail15normal_iteratorINS6_10device_ptrIfEEEES8_S8_S8_S8_S8_S8_S8_S8_EEEE15transform_tupleIifEEEPS9_S9_12reduce_tupleIifEEE10hipError_tPvRmT1_T2_T3_mT4_P12ihipStream_tbEUlT_E0_NS1_11comp_targetILNS1_3genE10ELNS1_11target_archE1201ELNS1_3gpuE5ELNS1_3repE0EEENS1_30default_config_static_selectorELNS0_4arch9wavefront6targetE1EEEvSY_
    .private_segment_fixed_size: 0
    .sgpr_count:     4
    .sgpr_spill_count: 0
    .symbol:         _ZN7rocprim17ROCPRIM_400000_NS6detail17trampoline_kernelINS0_14default_configENS1_22reduce_config_selectorIN6thrust23THRUST_200600_302600_NS5tupleIbffNS6_9null_typeES8_S8_S8_S8_S8_S8_EEEEZNS1_11reduce_implILb1ES3_NS6_11hip_rocprim26transform_input_iterator_tIS9_NS6_12zip_iteratorINS7_INS6_17counting_iteratorIiNS6_11use_defaultESG_SG_EENS6_6detail15normal_iteratorINS6_10device_ptrIfEEEES8_S8_S8_S8_S8_S8_S8_S8_EEEE15transform_tupleIifEEEPS9_S9_12reduce_tupleIifEEE10hipError_tPvRmT1_T2_T3_mT4_P12ihipStream_tbEUlT_E0_NS1_11comp_targetILNS1_3genE10ELNS1_11target_archE1201ELNS1_3gpuE5ELNS1_3repE0EEENS1_30default_config_static_selectorELNS0_4arch9wavefront6targetE1EEEvSY_.kd
    .uniform_work_group_size: 1
    .uses_dynamic_stack: false
    .vgpr_count:     0
    .vgpr_spill_count: 0
    .wavefront_size: 64
  - .agpr_count:     0
    .args:
      - .offset:         0
        .size:           80
        .value_kind:     by_value
    .group_segment_fixed_size: 0
    .kernarg_segment_align: 8
    .kernarg_segment_size: 80
    .language:       OpenCL C
    .language_version:
      - 2
      - 0
    .max_flat_workgroup_size: 256
    .name:           _ZN7rocprim17ROCPRIM_400000_NS6detail17trampoline_kernelINS0_14default_configENS1_22reduce_config_selectorIN6thrust23THRUST_200600_302600_NS5tupleIbffNS6_9null_typeES8_S8_S8_S8_S8_S8_EEEEZNS1_11reduce_implILb1ES3_NS6_11hip_rocprim26transform_input_iterator_tIS9_NS6_12zip_iteratorINS7_INS6_17counting_iteratorIiNS6_11use_defaultESG_SG_EENS6_6detail15normal_iteratorINS6_10device_ptrIfEEEES8_S8_S8_S8_S8_S8_S8_S8_EEEE15transform_tupleIifEEEPS9_S9_12reduce_tupleIifEEE10hipError_tPvRmT1_T2_T3_mT4_P12ihipStream_tbEUlT_E0_NS1_11comp_targetILNS1_3genE10ELNS1_11target_archE1200ELNS1_3gpuE4ELNS1_3repE0EEENS1_30default_config_static_selectorELNS0_4arch9wavefront6targetE1EEEvSY_
    .private_segment_fixed_size: 0
    .sgpr_count:     4
    .sgpr_spill_count: 0
    .symbol:         _ZN7rocprim17ROCPRIM_400000_NS6detail17trampoline_kernelINS0_14default_configENS1_22reduce_config_selectorIN6thrust23THRUST_200600_302600_NS5tupleIbffNS6_9null_typeES8_S8_S8_S8_S8_S8_EEEEZNS1_11reduce_implILb1ES3_NS6_11hip_rocprim26transform_input_iterator_tIS9_NS6_12zip_iteratorINS7_INS6_17counting_iteratorIiNS6_11use_defaultESG_SG_EENS6_6detail15normal_iteratorINS6_10device_ptrIfEEEES8_S8_S8_S8_S8_S8_S8_S8_EEEE15transform_tupleIifEEEPS9_S9_12reduce_tupleIifEEE10hipError_tPvRmT1_T2_T3_mT4_P12ihipStream_tbEUlT_E0_NS1_11comp_targetILNS1_3genE10ELNS1_11target_archE1200ELNS1_3gpuE4ELNS1_3repE0EEENS1_30default_config_static_selectorELNS0_4arch9wavefront6targetE1EEEvSY_.kd
    .uniform_work_group_size: 1
    .uses_dynamic_stack: false
    .vgpr_count:     0
    .vgpr_spill_count: 0
    .wavefront_size: 64
  - .agpr_count:     0
    .args:
      - .offset:         0
        .size:           80
        .value_kind:     by_value
    .group_segment_fixed_size: 0
    .kernarg_segment_align: 8
    .kernarg_segment_size: 80
    .language:       OpenCL C
    .language_version:
      - 2
      - 0
    .max_flat_workgroup_size: 256
    .name:           _ZN7rocprim17ROCPRIM_400000_NS6detail17trampoline_kernelINS0_14default_configENS1_22reduce_config_selectorIN6thrust23THRUST_200600_302600_NS5tupleIbffNS6_9null_typeES8_S8_S8_S8_S8_S8_EEEEZNS1_11reduce_implILb1ES3_NS6_11hip_rocprim26transform_input_iterator_tIS9_NS6_12zip_iteratorINS7_INS6_17counting_iteratorIiNS6_11use_defaultESG_SG_EENS6_6detail15normal_iteratorINS6_10device_ptrIfEEEES8_S8_S8_S8_S8_S8_S8_S8_EEEE15transform_tupleIifEEEPS9_S9_12reduce_tupleIifEEE10hipError_tPvRmT1_T2_T3_mT4_P12ihipStream_tbEUlT_E0_NS1_11comp_targetILNS1_3genE9ELNS1_11target_archE1100ELNS1_3gpuE3ELNS1_3repE0EEENS1_30default_config_static_selectorELNS0_4arch9wavefront6targetE1EEEvSY_
    .private_segment_fixed_size: 0
    .sgpr_count:     4
    .sgpr_spill_count: 0
    .symbol:         _ZN7rocprim17ROCPRIM_400000_NS6detail17trampoline_kernelINS0_14default_configENS1_22reduce_config_selectorIN6thrust23THRUST_200600_302600_NS5tupleIbffNS6_9null_typeES8_S8_S8_S8_S8_S8_EEEEZNS1_11reduce_implILb1ES3_NS6_11hip_rocprim26transform_input_iterator_tIS9_NS6_12zip_iteratorINS7_INS6_17counting_iteratorIiNS6_11use_defaultESG_SG_EENS6_6detail15normal_iteratorINS6_10device_ptrIfEEEES8_S8_S8_S8_S8_S8_S8_S8_EEEE15transform_tupleIifEEEPS9_S9_12reduce_tupleIifEEE10hipError_tPvRmT1_T2_T3_mT4_P12ihipStream_tbEUlT_E0_NS1_11comp_targetILNS1_3genE9ELNS1_11target_archE1100ELNS1_3gpuE3ELNS1_3repE0EEENS1_30default_config_static_selectorELNS0_4arch9wavefront6targetE1EEEvSY_.kd
    .uniform_work_group_size: 1
    .uses_dynamic_stack: false
    .vgpr_count:     0
    .vgpr_spill_count: 0
    .wavefront_size: 64
  - .agpr_count:     0
    .args:
      - .offset:         0
        .size:           80
        .value_kind:     by_value
    .group_segment_fixed_size: 0
    .kernarg_segment_align: 8
    .kernarg_segment_size: 80
    .language:       OpenCL C
    .language_version:
      - 2
      - 0
    .max_flat_workgroup_size: 256
    .name:           _ZN7rocprim17ROCPRIM_400000_NS6detail17trampoline_kernelINS0_14default_configENS1_22reduce_config_selectorIN6thrust23THRUST_200600_302600_NS5tupleIbffNS6_9null_typeES8_S8_S8_S8_S8_S8_EEEEZNS1_11reduce_implILb1ES3_NS6_11hip_rocprim26transform_input_iterator_tIS9_NS6_12zip_iteratorINS7_INS6_17counting_iteratorIiNS6_11use_defaultESG_SG_EENS6_6detail15normal_iteratorINS6_10device_ptrIfEEEES8_S8_S8_S8_S8_S8_S8_S8_EEEE15transform_tupleIifEEEPS9_S9_12reduce_tupleIifEEE10hipError_tPvRmT1_T2_T3_mT4_P12ihipStream_tbEUlT_E0_NS1_11comp_targetILNS1_3genE8ELNS1_11target_archE1030ELNS1_3gpuE2ELNS1_3repE0EEENS1_30default_config_static_selectorELNS0_4arch9wavefront6targetE1EEEvSY_
    .private_segment_fixed_size: 0
    .sgpr_count:     4
    .sgpr_spill_count: 0
    .symbol:         _ZN7rocprim17ROCPRIM_400000_NS6detail17trampoline_kernelINS0_14default_configENS1_22reduce_config_selectorIN6thrust23THRUST_200600_302600_NS5tupleIbffNS6_9null_typeES8_S8_S8_S8_S8_S8_EEEEZNS1_11reduce_implILb1ES3_NS6_11hip_rocprim26transform_input_iterator_tIS9_NS6_12zip_iteratorINS7_INS6_17counting_iteratorIiNS6_11use_defaultESG_SG_EENS6_6detail15normal_iteratorINS6_10device_ptrIfEEEES8_S8_S8_S8_S8_S8_S8_S8_EEEE15transform_tupleIifEEEPS9_S9_12reduce_tupleIifEEE10hipError_tPvRmT1_T2_T3_mT4_P12ihipStream_tbEUlT_E0_NS1_11comp_targetILNS1_3genE8ELNS1_11target_archE1030ELNS1_3gpuE2ELNS1_3repE0EEENS1_30default_config_static_selectorELNS0_4arch9wavefront6targetE1EEEvSY_.kd
    .uniform_work_group_size: 1
    .uses_dynamic_stack: false
    .vgpr_count:     0
    .vgpr_spill_count: 0
    .wavefront_size: 64
  - .agpr_count:     0
    .args:
      - .offset:         0
        .size:           64
        .value_kind:     by_value
    .group_segment_fixed_size: 0
    .kernarg_segment_align: 8
    .kernarg_segment_size: 64
    .language:       OpenCL C
    .language_version:
      - 2
      - 0
    .max_flat_workgroup_size: 128
    .name:           _ZN7rocprim17ROCPRIM_400000_NS6detail17trampoline_kernelINS0_14default_configENS1_22reduce_config_selectorIN6thrust23THRUST_200600_302600_NS5tupleIbffNS6_9null_typeES8_S8_S8_S8_S8_S8_EEEEZNS1_11reduce_implILb1ES3_NS6_11hip_rocprim26transform_input_iterator_tIS9_NS6_12zip_iteratorINS7_INS6_17counting_iteratorIiNS6_11use_defaultESG_SG_EENS6_6detail15normal_iteratorINS6_10device_ptrIfEEEES8_S8_S8_S8_S8_S8_S8_S8_EEEE15transform_tupleIifEEEPS9_S9_12reduce_tupleIifEEE10hipError_tPvRmT1_T2_T3_mT4_P12ihipStream_tbEUlT_E1_NS1_11comp_targetILNS1_3genE0ELNS1_11target_archE4294967295ELNS1_3gpuE0ELNS1_3repE0EEENS1_30default_config_static_selectorELNS0_4arch9wavefront6targetE1EEEvSY_
    .private_segment_fixed_size: 0
    .sgpr_count:     4
    .sgpr_spill_count: 0
    .symbol:         _ZN7rocprim17ROCPRIM_400000_NS6detail17trampoline_kernelINS0_14default_configENS1_22reduce_config_selectorIN6thrust23THRUST_200600_302600_NS5tupleIbffNS6_9null_typeES8_S8_S8_S8_S8_S8_EEEEZNS1_11reduce_implILb1ES3_NS6_11hip_rocprim26transform_input_iterator_tIS9_NS6_12zip_iteratorINS7_INS6_17counting_iteratorIiNS6_11use_defaultESG_SG_EENS6_6detail15normal_iteratorINS6_10device_ptrIfEEEES8_S8_S8_S8_S8_S8_S8_S8_EEEE15transform_tupleIifEEEPS9_S9_12reduce_tupleIifEEE10hipError_tPvRmT1_T2_T3_mT4_P12ihipStream_tbEUlT_E1_NS1_11comp_targetILNS1_3genE0ELNS1_11target_archE4294967295ELNS1_3gpuE0ELNS1_3repE0EEENS1_30default_config_static_selectorELNS0_4arch9wavefront6targetE1EEEvSY_.kd
    .uniform_work_group_size: 1
    .uses_dynamic_stack: false
    .vgpr_count:     0
    .vgpr_spill_count: 0
    .wavefront_size: 64
  - .agpr_count:     0
    .args:
      - .offset:         0
        .size:           64
        .value_kind:     by_value
    .group_segment_fixed_size: 0
    .kernarg_segment_align: 8
    .kernarg_segment_size: 64
    .language:       OpenCL C
    .language_version:
      - 2
      - 0
    .max_flat_workgroup_size: 256
    .name:           _ZN7rocprim17ROCPRIM_400000_NS6detail17trampoline_kernelINS0_14default_configENS1_22reduce_config_selectorIN6thrust23THRUST_200600_302600_NS5tupleIbffNS6_9null_typeES8_S8_S8_S8_S8_S8_EEEEZNS1_11reduce_implILb1ES3_NS6_11hip_rocprim26transform_input_iterator_tIS9_NS6_12zip_iteratorINS7_INS6_17counting_iteratorIiNS6_11use_defaultESG_SG_EENS6_6detail15normal_iteratorINS6_10device_ptrIfEEEES8_S8_S8_S8_S8_S8_S8_S8_EEEE15transform_tupleIifEEEPS9_S9_12reduce_tupleIifEEE10hipError_tPvRmT1_T2_T3_mT4_P12ihipStream_tbEUlT_E1_NS1_11comp_targetILNS1_3genE5ELNS1_11target_archE942ELNS1_3gpuE9ELNS1_3repE0EEENS1_30default_config_static_selectorELNS0_4arch9wavefront6targetE1EEEvSY_
    .private_segment_fixed_size: 0
    .sgpr_count:     4
    .sgpr_spill_count: 0
    .symbol:         _ZN7rocprim17ROCPRIM_400000_NS6detail17trampoline_kernelINS0_14default_configENS1_22reduce_config_selectorIN6thrust23THRUST_200600_302600_NS5tupleIbffNS6_9null_typeES8_S8_S8_S8_S8_S8_EEEEZNS1_11reduce_implILb1ES3_NS6_11hip_rocprim26transform_input_iterator_tIS9_NS6_12zip_iteratorINS7_INS6_17counting_iteratorIiNS6_11use_defaultESG_SG_EENS6_6detail15normal_iteratorINS6_10device_ptrIfEEEES8_S8_S8_S8_S8_S8_S8_S8_EEEE15transform_tupleIifEEEPS9_S9_12reduce_tupleIifEEE10hipError_tPvRmT1_T2_T3_mT4_P12ihipStream_tbEUlT_E1_NS1_11comp_targetILNS1_3genE5ELNS1_11target_archE942ELNS1_3gpuE9ELNS1_3repE0EEENS1_30default_config_static_selectorELNS0_4arch9wavefront6targetE1EEEvSY_.kd
    .uniform_work_group_size: 1
    .uses_dynamic_stack: false
    .vgpr_count:     0
    .vgpr_spill_count: 0
    .wavefront_size: 64
  - .agpr_count:     0
    .args:
      - .offset:         0
        .size:           64
        .value_kind:     by_value
    .group_segment_fixed_size: 288
    .kernarg_segment_align: 8
    .kernarg_segment_size: 64
    .language:       OpenCL C
    .language_version:
      - 2
      - 0
    .max_flat_workgroup_size: 256
    .name:           _ZN7rocprim17ROCPRIM_400000_NS6detail17trampoline_kernelINS0_14default_configENS1_22reduce_config_selectorIN6thrust23THRUST_200600_302600_NS5tupleIbffNS6_9null_typeES8_S8_S8_S8_S8_S8_EEEEZNS1_11reduce_implILb1ES3_NS6_11hip_rocprim26transform_input_iterator_tIS9_NS6_12zip_iteratorINS7_INS6_17counting_iteratorIiNS6_11use_defaultESG_SG_EENS6_6detail15normal_iteratorINS6_10device_ptrIfEEEES8_S8_S8_S8_S8_S8_S8_S8_EEEE15transform_tupleIifEEEPS9_S9_12reduce_tupleIifEEE10hipError_tPvRmT1_T2_T3_mT4_P12ihipStream_tbEUlT_E1_NS1_11comp_targetILNS1_3genE4ELNS1_11target_archE910ELNS1_3gpuE8ELNS1_3repE0EEENS1_30default_config_static_selectorELNS0_4arch9wavefront6targetE1EEEvSY_
    .private_segment_fixed_size: 0
    .sgpr_count:     59
    .sgpr_spill_count: 0
    .symbol:         _ZN7rocprim17ROCPRIM_400000_NS6detail17trampoline_kernelINS0_14default_configENS1_22reduce_config_selectorIN6thrust23THRUST_200600_302600_NS5tupleIbffNS6_9null_typeES8_S8_S8_S8_S8_S8_EEEEZNS1_11reduce_implILb1ES3_NS6_11hip_rocprim26transform_input_iterator_tIS9_NS6_12zip_iteratorINS7_INS6_17counting_iteratorIiNS6_11use_defaultESG_SG_EENS6_6detail15normal_iteratorINS6_10device_ptrIfEEEES8_S8_S8_S8_S8_S8_S8_S8_EEEE15transform_tupleIifEEEPS9_S9_12reduce_tupleIifEEE10hipError_tPvRmT1_T2_T3_mT4_P12ihipStream_tbEUlT_E1_NS1_11comp_targetILNS1_3genE4ELNS1_11target_archE910ELNS1_3gpuE8ELNS1_3repE0EEENS1_30default_config_static_selectorELNS0_4arch9wavefront6targetE1EEEvSY_.kd
    .uniform_work_group_size: 1
    .uses_dynamic_stack: false
    .vgpr_count:     70
    .vgpr_spill_count: 0
    .wavefront_size: 64
  - .agpr_count:     0
    .args:
      - .offset:         0
        .size:           64
        .value_kind:     by_value
    .group_segment_fixed_size: 0
    .kernarg_segment_align: 8
    .kernarg_segment_size: 64
    .language:       OpenCL C
    .language_version:
      - 2
      - 0
    .max_flat_workgroup_size: 128
    .name:           _ZN7rocprim17ROCPRIM_400000_NS6detail17trampoline_kernelINS0_14default_configENS1_22reduce_config_selectorIN6thrust23THRUST_200600_302600_NS5tupleIbffNS6_9null_typeES8_S8_S8_S8_S8_S8_EEEEZNS1_11reduce_implILb1ES3_NS6_11hip_rocprim26transform_input_iterator_tIS9_NS6_12zip_iteratorINS7_INS6_17counting_iteratorIiNS6_11use_defaultESG_SG_EENS6_6detail15normal_iteratorINS6_10device_ptrIfEEEES8_S8_S8_S8_S8_S8_S8_S8_EEEE15transform_tupleIifEEEPS9_S9_12reduce_tupleIifEEE10hipError_tPvRmT1_T2_T3_mT4_P12ihipStream_tbEUlT_E1_NS1_11comp_targetILNS1_3genE3ELNS1_11target_archE908ELNS1_3gpuE7ELNS1_3repE0EEENS1_30default_config_static_selectorELNS0_4arch9wavefront6targetE1EEEvSY_
    .private_segment_fixed_size: 0
    .sgpr_count:     4
    .sgpr_spill_count: 0
    .symbol:         _ZN7rocprim17ROCPRIM_400000_NS6detail17trampoline_kernelINS0_14default_configENS1_22reduce_config_selectorIN6thrust23THRUST_200600_302600_NS5tupleIbffNS6_9null_typeES8_S8_S8_S8_S8_S8_EEEEZNS1_11reduce_implILb1ES3_NS6_11hip_rocprim26transform_input_iterator_tIS9_NS6_12zip_iteratorINS7_INS6_17counting_iteratorIiNS6_11use_defaultESG_SG_EENS6_6detail15normal_iteratorINS6_10device_ptrIfEEEES8_S8_S8_S8_S8_S8_S8_S8_EEEE15transform_tupleIifEEEPS9_S9_12reduce_tupleIifEEE10hipError_tPvRmT1_T2_T3_mT4_P12ihipStream_tbEUlT_E1_NS1_11comp_targetILNS1_3genE3ELNS1_11target_archE908ELNS1_3gpuE7ELNS1_3repE0EEENS1_30default_config_static_selectorELNS0_4arch9wavefront6targetE1EEEvSY_.kd
    .uniform_work_group_size: 1
    .uses_dynamic_stack: false
    .vgpr_count:     0
    .vgpr_spill_count: 0
    .wavefront_size: 64
  - .agpr_count:     0
    .args:
      - .offset:         0
        .size:           64
        .value_kind:     by_value
    .group_segment_fixed_size: 0
    .kernarg_segment_align: 8
    .kernarg_segment_size: 64
    .language:       OpenCL C
    .language_version:
      - 2
      - 0
    .max_flat_workgroup_size: 128
    .name:           _ZN7rocprim17ROCPRIM_400000_NS6detail17trampoline_kernelINS0_14default_configENS1_22reduce_config_selectorIN6thrust23THRUST_200600_302600_NS5tupleIbffNS6_9null_typeES8_S8_S8_S8_S8_S8_EEEEZNS1_11reduce_implILb1ES3_NS6_11hip_rocprim26transform_input_iterator_tIS9_NS6_12zip_iteratorINS7_INS6_17counting_iteratorIiNS6_11use_defaultESG_SG_EENS6_6detail15normal_iteratorINS6_10device_ptrIfEEEES8_S8_S8_S8_S8_S8_S8_S8_EEEE15transform_tupleIifEEEPS9_S9_12reduce_tupleIifEEE10hipError_tPvRmT1_T2_T3_mT4_P12ihipStream_tbEUlT_E1_NS1_11comp_targetILNS1_3genE2ELNS1_11target_archE906ELNS1_3gpuE6ELNS1_3repE0EEENS1_30default_config_static_selectorELNS0_4arch9wavefront6targetE1EEEvSY_
    .private_segment_fixed_size: 0
    .sgpr_count:     4
    .sgpr_spill_count: 0
    .symbol:         _ZN7rocprim17ROCPRIM_400000_NS6detail17trampoline_kernelINS0_14default_configENS1_22reduce_config_selectorIN6thrust23THRUST_200600_302600_NS5tupleIbffNS6_9null_typeES8_S8_S8_S8_S8_S8_EEEEZNS1_11reduce_implILb1ES3_NS6_11hip_rocprim26transform_input_iterator_tIS9_NS6_12zip_iteratorINS7_INS6_17counting_iteratorIiNS6_11use_defaultESG_SG_EENS6_6detail15normal_iteratorINS6_10device_ptrIfEEEES8_S8_S8_S8_S8_S8_S8_S8_EEEE15transform_tupleIifEEEPS9_S9_12reduce_tupleIifEEE10hipError_tPvRmT1_T2_T3_mT4_P12ihipStream_tbEUlT_E1_NS1_11comp_targetILNS1_3genE2ELNS1_11target_archE906ELNS1_3gpuE6ELNS1_3repE0EEENS1_30default_config_static_selectorELNS0_4arch9wavefront6targetE1EEEvSY_.kd
    .uniform_work_group_size: 1
    .uses_dynamic_stack: false
    .vgpr_count:     0
    .vgpr_spill_count: 0
    .wavefront_size: 64
  - .agpr_count:     0
    .args:
      - .offset:         0
        .size:           64
        .value_kind:     by_value
    .group_segment_fixed_size: 0
    .kernarg_segment_align: 8
    .kernarg_segment_size: 64
    .language:       OpenCL C
    .language_version:
      - 2
      - 0
    .max_flat_workgroup_size: 256
    .name:           _ZN7rocprim17ROCPRIM_400000_NS6detail17trampoline_kernelINS0_14default_configENS1_22reduce_config_selectorIN6thrust23THRUST_200600_302600_NS5tupleIbffNS6_9null_typeES8_S8_S8_S8_S8_S8_EEEEZNS1_11reduce_implILb1ES3_NS6_11hip_rocprim26transform_input_iterator_tIS9_NS6_12zip_iteratorINS7_INS6_17counting_iteratorIiNS6_11use_defaultESG_SG_EENS6_6detail15normal_iteratorINS6_10device_ptrIfEEEES8_S8_S8_S8_S8_S8_S8_S8_EEEE15transform_tupleIifEEEPS9_S9_12reduce_tupleIifEEE10hipError_tPvRmT1_T2_T3_mT4_P12ihipStream_tbEUlT_E1_NS1_11comp_targetILNS1_3genE10ELNS1_11target_archE1201ELNS1_3gpuE5ELNS1_3repE0EEENS1_30default_config_static_selectorELNS0_4arch9wavefront6targetE1EEEvSY_
    .private_segment_fixed_size: 0
    .sgpr_count:     4
    .sgpr_spill_count: 0
    .symbol:         _ZN7rocprim17ROCPRIM_400000_NS6detail17trampoline_kernelINS0_14default_configENS1_22reduce_config_selectorIN6thrust23THRUST_200600_302600_NS5tupleIbffNS6_9null_typeES8_S8_S8_S8_S8_S8_EEEEZNS1_11reduce_implILb1ES3_NS6_11hip_rocprim26transform_input_iterator_tIS9_NS6_12zip_iteratorINS7_INS6_17counting_iteratorIiNS6_11use_defaultESG_SG_EENS6_6detail15normal_iteratorINS6_10device_ptrIfEEEES8_S8_S8_S8_S8_S8_S8_S8_EEEE15transform_tupleIifEEEPS9_S9_12reduce_tupleIifEEE10hipError_tPvRmT1_T2_T3_mT4_P12ihipStream_tbEUlT_E1_NS1_11comp_targetILNS1_3genE10ELNS1_11target_archE1201ELNS1_3gpuE5ELNS1_3repE0EEENS1_30default_config_static_selectorELNS0_4arch9wavefront6targetE1EEEvSY_.kd
    .uniform_work_group_size: 1
    .uses_dynamic_stack: false
    .vgpr_count:     0
    .vgpr_spill_count: 0
    .wavefront_size: 64
  - .agpr_count:     0
    .args:
      - .offset:         0
        .size:           64
        .value_kind:     by_value
    .group_segment_fixed_size: 0
    .kernarg_segment_align: 8
    .kernarg_segment_size: 64
    .language:       OpenCL C
    .language_version:
      - 2
      - 0
    .max_flat_workgroup_size: 256
    .name:           _ZN7rocprim17ROCPRIM_400000_NS6detail17trampoline_kernelINS0_14default_configENS1_22reduce_config_selectorIN6thrust23THRUST_200600_302600_NS5tupleIbffNS6_9null_typeES8_S8_S8_S8_S8_S8_EEEEZNS1_11reduce_implILb1ES3_NS6_11hip_rocprim26transform_input_iterator_tIS9_NS6_12zip_iteratorINS7_INS6_17counting_iteratorIiNS6_11use_defaultESG_SG_EENS6_6detail15normal_iteratorINS6_10device_ptrIfEEEES8_S8_S8_S8_S8_S8_S8_S8_EEEE15transform_tupleIifEEEPS9_S9_12reduce_tupleIifEEE10hipError_tPvRmT1_T2_T3_mT4_P12ihipStream_tbEUlT_E1_NS1_11comp_targetILNS1_3genE10ELNS1_11target_archE1200ELNS1_3gpuE4ELNS1_3repE0EEENS1_30default_config_static_selectorELNS0_4arch9wavefront6targetE1EEEvSY_
    .private_segment_fixed_size: 0
    .sgpr_count:     4
    .sgpr_spill_count: 0
    .symbol:         _ZN7rocprim17ROCPRIM_400000_NS6detail17trampoline_kernelINS0_14default_configENS1_22reduce_config_selectorIN6thrust23THRUST_200600_302600_NS5tupleIbffNS6_9null_typeES8_S8_S8_S8_S8_S8_EEEEZNS1_11reduce_implILb1ES3_NS6_11hip_rocprim26transform_input_iterator_tIS9_NS6_12zip_iteratorINS7_INS6_17counting_iteratorIiNS6_11use_defaultESG_SG_EENS6_6detail15normal_iteratorINS6_10device_ptrIfEEEES8_S8_S8_S8_S8_S8_S8_S8_EEEE15transform_tupleIifEEEPS9_S9_12reduce_tupleIifEEE10hipError_tPvRmT1_T2_T3_mT4_P12ihipStream_tbEUlT_E1_NS1_11comp_targetILNS1_3genE10ELNS1_11target_archE1200ELNS1_3gpuE4ELNS1_3repE0EEENS1_30default_config_static_selectorELNS0_4arch9wavefront6targetE1EEEvSY_.kd
    .uniform_work_group_size: 1
    .uses_dynamic_stack: false
    .vgpr_count:     0
    .vgpr_spill_count: 0
    .wavefront_size: 64
  - .agpr_count:     0
    .args:
      - .offset:         0
        .size:           64
        .value_kind:     by_value
    .group_segment_fixed_size: 0
    .kernarg_segment_align: 8
    .kernarg_segment_size: 64
    .language:       OpenCL C
    .language_version:
      - 2
      - 0
    .max_flat_workgroup_size: 256
    .name:           _ZN7rocprim17ROCPRIM_400000_NS6detail17trampoline_kernelINS0_14default_configENS1_22reduce_config_selectorIN6thrust23THRUST_200600_302600_NS5tupleIbffNS6_9null_typeES8_S8_S8_S8_S8_S8_EEEEZNS1_11reduce_implILb1ES3_NS6_11hip_rocprim26transform_input_iterator_tIS9_NS6_12zip_iteratorINS7_INS6_17counting_iteratorIiNS6_11use_defaultESG_SG_EENS6_6detail15normal_iteratorINS6_10device_ptrIfEEEES8_S8_S8_S8_S8_S8_S8_S8_EEEE15transform_tupleIifEEEPS9_S9_12reduce_tupleIifEEE10hipError_tPvRmT1_T2_T3_mT4_P12ihipStream_tbEUlT_E1_NS1_11comp_targetILNS1_3genE9ELNS1_11target_archE1100ELNS1_3gpuE3ELNS1_3repE0EEENS1_30default_config_static_selectorELNS0_4arch9wavefront6targetE1EEEvSY_
    .private_segment_fixed_size: 0
    .sgpr_count:     4
    .sgpr_spill_count: 0
    .symbol:         _ZN7rocprim17ROCPRIM_400000_NS6detail17trampoline_kernelINS0_14default_configENS1_22reduce_config_selectorIN6thrust23THRUST_200600_302600_NS5tupleIbffNS6_9null_typeES8_S8_S8_S8_S8_S8_EEEEZNS1_11reduce_implILb1ES3_NS6_11hip_rocprim26transform_input_iterator_tIS9_NS6_12zip_iteratorINS7_INS6_17counting_iteratorIiNS6_11use_defaultESG_SG_EENS6_6detail15normal_iteratorINS6_10device_ptrIfEEEES8_S8_S8_S8_S8_S8_S8_S8_EEEE15transform_tupleIifEEEPS9_S9_12reduce_tupleIifEEE10hipError_tPvRmT1_T2_T3_mT4_P12ihipStream_tbEUlT_E1_NS1_11comp_targetILNS1_3genE9ELNS1_11target_archE1100ELNS1_3gpuE3ELNS1_3repE0EEENS1_30default_config_static_selectorELNS0_4arch9wavefront6targetE1EEEvSY_.kd
    .uniform_work_group_size: 1
    .uses_dynamic_stack: false
    .vgpr_count:     0
    .vgpr_spill_count: 0
    .wavefront_size: 64
  - .agpr_count:     0
    .args:
      - .offset:         0
        .size:           64
        .value_kind:     by_value
    .group_segment_fixed_size: 0
    .kernarg_segment_align: 8
    .kernarg_segment_size: 64
    .language:       OpenCL C
    .language_version:
      - 2
      - 0
    .max_flat_workgroup_size: 256
    .name:           _ZN7rocprim17ROCPRIM_400000_NS6detail17trampoline_kernelINS0_14default_configENS1_22reduce_config_selectorIN6thrust23THRUST_200600_302600_NS5tupleIbffNS6_9null_typeES8_S8_S8_S8_S8_S8_EEEEZNS1_11reduce_implILb1ES3_NS6_11hip_rocprim26transform_input_iterator_tIS9_NS6_12zip_iteratorINS7_INS6_17counting_iteratorIiNS6_11use_defaultESG_SG_EENS6_6detail15normal_iteratorINS6_10device_ptrIfEEEES8_S8_S8_S8_S8_S8_S8_S8_EEEE15transform_tupleIifEEEPS9_S9_12reduce_tupleIifEEE10hipError_tPvRmT1_T2_T3_mT4_P12ihipStream_tbEUlT_E1_NS1_11comp_targetILNS1_3genE8ELNS1_11target_archE1030ELNS1_3gpuE2ELNS1_3repE0EEENS1_30default_config_static_selectorELNS0_4arch9wavefront6targetE1EEEvSY_
    .private_segment_fixed_size: 0
    .sgpr_count:     4
    .sgpr_spill_count: 0
    .symbol:         _ZN7rocprim17ROCPRIM_400000_NS6detail17trampoline_kernelINS0_14default_configENS1_22reduce_config_selectorIN6thrust23THRUST_200600_302600_NS5tupleIbffNS6_9null_typeES8_S8_S8_S8_S8_S8_EEEEZNS1_11reduce_implILb1ES3_NS6_11hip_rocprim26transform_input_iterator_tIS9_NS6_12zip_iteratorINS7_INS6_17counting_iteratorIiNS6_11use_defaultESG_SG_EENS6_6detail15normal_iteratorINS6_10device_ptrIfEEEES8_S8_S8_S8_S8_S8_S8_S8_EEEE15transform_tupleIifEEEPS9_S9_12reduce_tupleIifEEE10hipError_tPvRmT1_T2_T3_mT4_P12ihipStream_tbEUlT_E1_NS1_11comp_targetILNS1_3genE8ELNS1_11target_archE1030ELNS1_3gpuE2ELNS1_3repE0EEENS1_30default_config_static_selectorELNS0_4arch9wavefront6targetE1EEEvSY_.kd
    .uniform_work_group_size: 1
    .uses_dynamic_stack: false
    .vgpr_count:     0
    .vgpr_spill_count: 0
    .wavefront_size: 64
  - .agpr_count:     0
    .args:
      - .offset:         0
        .size:           16
        .value_kind:     by_value
      - .offset:         16
        .size:           8
        .value_kind:     by_value
      - .offset:         24
        .size:           8
        .value_kind:     by_value
    .group_segment_fixed_size: 0
    .kernarg_segment_align: 8
    .kernarg_segment_size: 32
    .language:       OpenCL C
    .language_version:
      - 2
      - 0
    .max_flat_workgroup_size: 256
    .name:           _ZN6thrust23THRUST_200600_302600_NS11hip_rocprim14__parallel_for6kernelILj256ENS1_10for_each_fINS0_7pointerINS0_5tupleIbffNS0_9null_typeES7_S7_S7_S7_S7_S7_EENS1_3tagENS0_11use_defaultESA_EENS0_6detail16wrapped_functionINSC_23allocator_traits_detail24construct1_via_allocatorINSC_18no_throw_allocatorINSC_19temporary_allocatorIS8_S9_EEEEEEvEEEEmLj1EEEvT0_T1_SO_
    .private_segment_fixed_size: 0
    .sgpr_count:     20
    .sgpr_spill_count: 0
    .symbol:         _ZN6thrust23THRUST_200600_302600_NS11hip_rocprim14__parallel_for6kernelILj256ENS1_10for_each_fINS0_7pointerINS0_5tupleIbffNS0_9null_typeES7_S7_S7_S7_S7_S7_EENS1_3tagENS0_11use_defaultESA_EENS0_6detail16wrapped_functionINSC_23allocator_traits_detail24construct1_via_allocatorINSC_18no_throw_allocatorINSC_19temporary_allocatorIS8_S9_EEEEEEvEEEEmLj1EEEvT0_T1_SO_.kd
    .uniform_work_group_size: 1
    .uses_dynamic_stack: false
    .vgpr_count:     4
    .vgpr_spill_count: 0
    .wavefront_size: 64
  - .agpr_count:     0
    .args:
      - .offset:         0
        .size:           16
        .value_kind:     by_value
      - .offset:         16
        .size:           8
        .value_kind:     by_value
      - .offset:         24
        .size:           8
        .value_kind:     by_value
    .group_segment_fixed_size: 0
    .kernarg_segment_align: 8
    .kernarg_segment_size: 32
    .language:       OpenCL C
    .language_version:
      - 2
      - 0
    .max_flat_workgroup_size: 256
    .name:           _ZN6thrust23THRUST_200600_302600_NS11hip_rocprim14__parallel_for6kernelILj256ENS1_10for_each_fINS0_7pointerINS0_5tupleIbffNS0_9null_typeES7_S7_S7_S7_S7_S7_EENS1_3tagENS0_11use_defaultESA_EENS0_6detail16wrapped_functionINSC_23allocator_traits_detail5gozerEvEEEElLj1EEEvT0_T1_SJ_
    .private_segment_fixed_size: 0
    .sgpr_count:     4
    .sgpr_spill_count: 0
    .symbol:         _ZN6thrust23THRUST_200600_302600_NS11hip_rocprim14__parallel_for6kernelILj256ENS1_10for_each_fINS0_7pointerINS0_5tupleIbffNS0_9null_typeES7_S7_S7_S7_S7_S7_EENS1_3tagENS0_11use_defaultESA_EENS0_6detail16wrapped_functionINSC_23allocator_traits_detail5gozerEvEEEElLj1EEEvT0_T1_SJ_.kd
    .uniform_work_group_size: 1
    .uses_dynamic_stack: false
    .vgpr_count:     0
    .vgpr_spill_count: 0
    .wavefront_size: 64
  - .agpr_count:     0
    .args:
      - .offset:         0
        .size:           16
        .value_kind:     by_value
      - .offset:         16
        .size:           8
        .value_kind:     by_value
      - .offset:         24
        .size:           8
        .value_kind:     by_value
    .group_segment_fixed_size: 0
    .kernarg_segment_align: 8
    .kernarg_segment_size: 32
    .language:       OpenCL C
    .language_version:
      - 2
      - 0
    .max_flat_workgroup_size: 256
    .name:           _ZN6thrust23THRUST_200600_302600_NS11hip_rocprim14__parallel_for6kernelILj256ENS1_20__uninitialized_copy7functorIPNS0_5tupleIbffNS0_9null_typeES7_S7_S7_S7_S7_S7_EENS0_7pointerIS8_NS1_3tagENS0_11use_defaultESC_EEEEmLj1EEEvT0_T1_SG_
    .private_segment_fixed_size: 0
    .sgpr_count:     20
    .sgpr_spill_count: 0
    .symbol:         _ZN6thrust23THRUST_200600_302600_NS11hip_rocprim14__parallel_for6kernelILj256ENS1_20__uninitialized_copy7functorIPNS0_5tupleIbffNS0_9null_typeES7_S7_S7_S7_S7_S7_EENS0_7pointerIS8_NS1_3tagENS0_11use_defaultESC_EEEEmLj1EEEvT0_T1_SG_.kd
    .uniform_work_group_size: 1
    .uses_dynamic_stack: false
    .vgpr_count:     8
    .vgpr_spill_count: 0
    .wavefront_size: 64
amdhsa.target:   amdgcn-amd-amdhsa--gfx90a
amdhsa.version:
  - 1
  - 2
...

	.end_amdgpu_metadata
